;; amdgpu-corpus repo=ROCm/rocFFT kind=compiled arch=gfx906 opt=O3
	.text
	.amdgcn_target "amdgcn-amd-amdhsa--gfx906"
	.amdhsa_code_object_version 6
	.protected	bluestein_single_back_len234_dim1_dp_op_CI_CI ; -- Begin function bluestein_single_back_len234_dim1_dp_op_CI_CI
	.globl	bluestein_single_back_len234_dim1_dp_op_CI_CI
	.p2align	8
	.type	bluestein_single_back_len234_dim1_dp_op_CI_CI,@function
bluestein_single_back_len234_dim1_dp_op_CI_CI: ; @bluestein_single_back_len234_dim1_dp_op_CI_CI
; %bb.0:
	s_mov_b64 s[54:55], s[2:3]
	s_mov_b64 s[52:53], s[0:1]
	s_load_dwordx4 s[0:3], s[4:5], 0x28
	v_mul_u32_u24_e32 v1, 0x9d9, v0
	v_lshrrev_b32_e32 v1, 16, v1
	v_lshl_add_u32 v116, s6, 1, v1
	v_mov_b32_e32 v117, 0
	s_add_u32 s52, s52, s7
	s_waitcnt lgkmcnt(0)
	v_cmp_gt_u64_e32 vcc, s[0:1], v[116:117]
	s_addc_u32 s53, s53, 0
	s_and_saveexec_b64 s[0:1], vcc
	s_cbranch_execz .LBB0_23
; %bb.1:
	s_load_dwordx2 s[12:13], s[4:5], 0x0
	s_load_dwordx2 s[14:15], s[4:5], 0x38
	v_mul_lo_u16_e32 v2, 26, v1
	v_sub_u16_e32 v214, v0, v2
	v_and_b32_e32 v0, 1, v1
	v_mov_b32_e32 v1, 0xea
	v_cmp_eq_u32_e32 vcc, 1, v0
	v_cndmask_b32_e32 v215, 0, v1, vcc
	v_cmp_gt_u16_e64 s[0:1], 18, v214
	v_lshlrev_b32_e32 v213, 4, v214
	v_lshlrev_b32_e32 v216, 4, v215
	s_and_saveexec_b64 s[6:7], s[0:1]
	s_cbranch_execz .LBB0_3
; %bb.2:
	s_load_dwordx2 s[8:9], s[4:5], 0x18
	s_waitcnt lgkmcnt(0)
	s_load_dwordx4 s[8:11], s[8:9], 0x0
	s_waitcnt lgkmcnt(0)
	v_mad_u64_u32 v[0:1], s[16:17], s10, v116, 0
	v_mad_u64_u32 v[2:3], s[16:17], s8, v214, 0
	;; [unrolled: 1-line block ×4, first 2 shown]
	v_mov_b32_e32 v1, v4
	v_lshlrev_b64 v[0:1], 4, v[0:1]
	v_mov_b32_e32 v3, v5
	v_mov_b32_e32 v6, s3
	v_lshlrev_b64 v[2:3], 4, v[2:3]
	v_add_co_u32_e32 v0, vcc, s2, v0
	v_addc_co_u32_e32 v1, vcc, v6, v1, vcc
	v_add_co_u32_e32 v16, vcc, v0, v2
	s_mul_i32 s2, s9, 0x120
	s_mul_hi_u32 s3, s8, 0x120
	v_addc_co_u32_e32 v17, vcc, v1, v3, vcc
	s_add_i32 s2, s3, s2
	s_mul_i32 s3, s8, 0x120
	v_mov_b32_e32 v0, s2
	v_add_co_u32_e32 v18, vcc, s3, v16
	v_addc_co_u32_e32 v19, vcc, v17, v0, vcc
	global_load_dwordx4 v[0:3], v[16:17], off
	global_load_dwordx4 v[4:7], v[18:19], off
	global_load_dwordx4 v[8:11], v213, s[12:13]
	global_load_dwordx4 v[12:15], v213, s[12:13] offset:288
	v_mov_b32_e32 v16, s2
	v_add_co_u32_e32 v32, vcc, s3, v18
	v_addc_co_u32_e32 v33, vcc, v19, v16, vcc
	v_add_co_u32_e32 v34, vcc, s3, v32
	v_addc_co_u32_e32 v35, vcc, v33, v16, vcc
	global_load_dwordx4 v[16:19], v[32:33], off
	global_load_dwordx4 v[20:23], v[34:35], off
	global_load_dwordx4 v[24:27], v213, s[12:13] offset:576
	global_load_dwordx4 v[28:31], v213, s[12:13] offset:864
	v_mov_b32_e32 v32, s2
	v_add_co_u32_e32 v36, vcc, s3, v34
	v_addc_co_u32_e32 v37, vcc, v35, v32, vcc
	v_mov_b32_e32 v38, s2
	v_add_co_u32_e32 v48, vcc, s3, v36
	global_load_dwordx4 v[32:35], v[36:37], off
	v_addc_co_u32_e32 v49, vcc, v37, v38, vcc
	global_load_dwordx4 v[36:39], v[48:49], off
	global_load_dwordx4 v[40:43], v213, s[12:13] offset:1152
	global_load_dwordx4 v[44:47], v213, s[12:13] offset:1440
	v_mov_b32_e32 v50, s2
	v_add_co_u32_e32 v52, vcc, s3, v48
	v_addc_co_u32_e32 v53, vcc, v49, v50, vcc
	v_mov_b32_e32 v54, s2
	v_add_co_u32_e32 v64, vcc, s3, v52
	v_addc_co_u32_e32 v65, vcc, v53, v54, vcc
	;; [unrolled: 3-line block ×4, first 2 shown]
	global_load_dwordx4 v[48:51], v[52:53], off
	v_mov_b32_e32 v82, s2
	v_add_co_u32_e32 v84, vcc, s3, v80
	global_load_dwordx4 v[52:55], v[64:65], off
	global_load_dwordx4 v[56:59], v213, s[12:13] offset:1728
	global_load_dwordx4 v[60:63], v213, s[12:13] offset:2016
	v_addc_co_u32_e32 v85, vcc, v81, v82, vcc
	global_load_dwordx4 v[64:67], v[68:69], off
	v_mov_b32_e32 v86, s2
	v_add_co_u32_e32 v96, vcc, s3, v84
	global_load_dwordx4 v[68:71], v[80:81], off
	global_load_dwordx4 v[72:75], v213, s[12:13] offset:2304
	global_load_dwordx4 v[76:79], v213, s[12:13] offset:2592
	v_addc_co_u32_e32 v97, vcc, v85, v86, vcc
	;; [unrolled: 7-line block ×3, first 2 shown]
	global_load_dwordx4 v[96:99], v[104:105], off
	global_load_dwordx4 v[100:103], v213, s[12:13] offset:3456
	s_waitcnt vmcnt(23)
	v_mul_f64 v[104:105], v[2:3], v[10:11]
	v_mul_f64 v[10:11], v[0:1], v[10:11]
	v_fma_f64 v[0:1], v[0:1], v[8:9], v[104:105]
	v_fma_f64 v[2:3], v[2:3], v[8:9], -v[10:11]
	s_waitcnt vmcnt(22)
	v_mul_f64 v[8:9], v[6:7], v[14:15]
	v_mul_f64 v[10:11], v[4:5], v[14:15]
	s_waitcnt vmcnt(19)
	v_mul_f64 v[14:15], v[18:19], v[26:27]
	v_mul_f64 v[26:27], v[16:17], v[26:27]
	;; [unrolled: 3-line block ×3, first 2 shown]
	v_fma_f64 v[4:5], v[4:5], v[12:13], v[8:9]
	v_fma_f64 v[6:7], v[6:7], v[12:13], -v[10:11]
	v_fma_f64 v[8:9], v[16:17], v[24:25], v[14:15]
	v_fma_f64 v[10:11], v[18:19], v[24:25], -v[26:27]
	s_waitcnt vmcnt(15)
	v_mul_f64 v[106:107], v[34:35], v[42:43]
	v_mul_f64 v[42:43], v[32:33], v[42:43]
	v_fma_f64 v[12:13], v[20:21], v[28:29], v[104:105]
	v_fma_f64 v[14:15], v[22:23], v[28:29], -v[30:31]
	v_lshl_add_u32 v20, v214, 4, v216
	ds_write_b128 v20, v[0:3]
	s_waitcnt vmcnt(14)
	v_mul_f64 v[0:1], v[38:39], v[46:47]
	v_mul_f64 v[2:3], v[36:37], v[46:47]
	v_fma_f64 v[16:17], v[32:33], v[40:41], v[106:107]
	v_fma_f64 v[18:19], v[34:35], v[40:41], -v[42:43]
	v_add_u32_e32 v32, v216, v213
	ds_write_b128 v32, v[4:7] offset:288
	ds_write_b128 v32, v[8:11] offset:576
	;; [unrolled: 1-line block ×4, first 2 shown]
	v_fma_f64 v[0:1], v[36:37], v[44:45], v[0:1]
	v_fma_f64 v[2:3], v[38:39], v[44:45], -v[2:3]
	s_waitcnt vmcnt(11)
	v_mul_f64 v[4:5], v[50:51], v[58:59]
	v_mul_f64 v[6:7], v[48:49], v[58:59]
	s_waitcnt vmcnt(10)
	v_mul_f64 v[8:9], v[54:55], v[62:63]
	v_mul_f64 v[10:11], v[52:53], v[62:63]
	;; [unrolled: 3-line block ×4, first 2 shown]
	v_fma_f64 v[4:5], v[48:49], v[56:57], v[4:5]
	v_fma_f64 v[6:7], v[50:51], v[56:57], -v[6:7]
	v_fma_f64 v[8:9], v[52:53], v[60:61], v[8:9]
	s_waitcnt vmcnt(3)
	v_mul_f64 v[20:21], v[82:83], v[90:91]
	v_mul_f64 v[22:23], v[80:81], v[90:91]
	s_waitcnt vmcnt(2)
	v_mul_f64 v[24:25], v[86:87], v[94:95]
	v_mul_f64 v[26:27], v[84:85], v[94:95]
	;; [unrolled: 3-line block ×3, first 2 shown]
	v_fma_f64 v[10:11], v[54:55], v[60:61], -v[10:11]
	v_fma_f64 v[12:13], v[64:65], v[72:73], v[12:13]
	v_fma_f64 v[14:15], v[66:67], v[72:73], -v[14:15]
	v_fma_f64 v[16:17], v[68:69], v[76:77], v[16:17]
	;; [unrolled: 2-line block ×5, first 2 shown]
	v_fma_f64 v[30:31], v[98:99], v[100:101], -v[30:31]
	ds_write_b128 v32, v[0:3] offset:1440
	ds_write_b128 v32, v[4:7] offset:1728
	;; [unrolled: 1-line block ×8, first 2 shown]
.LBB0_3:
	s_or_b64 exec, exec, s[6:7]
	s_load_dwordx2 s[2:3], s[4:5], 0x20
	s_load_dwordx2 s[8:9], s[4:5], 0x8
	s_waitcnt lgkmcnt(0)
	; wave barrier
	s_waitcnt lgkmcnt(0)
                                        ; implicit-def: $vgpr12_vgpr13
                                        ; implicit-def: $vgpr16_vgpr17
                                        ; implicit-def: $vgpr20_vgpr21
                                        ; implicit-def: $vgpr24_vgpr25
                                        ; implicit-def: $vgpr28_vgpr29
                                        ; implicit-def: $vgpr32_vgpr33
                                        ; implicit-def: $vgpr36_vgpr37
                                        ; implicit-def: $vgpr40_vgpr41
                                        ; implicit-def: $vgpr44_vgpr45
                                        ; implicit-def: $vgpr48_vgpr49
                                        ; implicit-def: $vgpr52_vgpr53
                                        ; implicit-def: $vgpr56_vgpr57
                                        ; implicit-def: $vgpr60_vgpr61
	s_and_saveexec_b64 s[4:5], s[0:1]
	s_cbranch_execz .LBB0_5
; %bb.4:
	v_lshl_add_u32 v0, v215, 4, v213
	ds_read_b128 v[12:15], v0
	ds_read_b128 v[16:19], v0 offset:288
	ds_read_b128 v[20:23], v0 offset:576
	;; [unrolled: 1-line block ×12, first 2 shown]
.LBB0_5:
	s_or_b64 exec, exec, s[4:5]
	s_waitcnt lgkmcnt(0)
	v_add_f64 v[114:115], v[16:17], -v[60:61]
	s_mov_b32 s22, 0x4267c47c
	s_mov_b32 s23, 0xbfddbe06
	v_add_f64 v[100:101], v[18:19], v[62:63]
	v_add_f64 v[139:140], v[20:21], -v[56:57]
	s_mov_b32 s4, 0xe00740e9
	s_mov_b32 s20, 0x42a4c3d2
	;; [unrolled: 1-line block ×3, first 2 shown]
	v_mul_f64 v[70:71], v[114:115], s[22:23]
	s_mov_b32 s21, 0xbfea55e2
	v_add_f64 v[110:111], v[22:23], v[58:59]
	v_add_f64 v[143:144], v[24:25], -v[52:53]
	v_mul_f64 v[74:75], v[139:140], s[20:21]
	s_mov_b32 s6, 0x1ea71119
	s_mov_b32 s30, 0x66966769
	;; [unrolled: 1-line block ×3, first 2 shown]
	v_fma_f64 v[2:3], v[100:101], s[4:5], -v[70:71]
	s_mov_b32 s31, 0xbfefc445
	v_add_f64 v[125:126], v[26:27], v[54:55]
	v_mul_f64 v[78:79], v[143:144], s[30:31]
	v_fma_f64 v[6:7], v[110:111], s[6:7], -v[74:75]
	v_add_f64 v[153:154], v[28:29], -v[48:49]
	s_mov_b32 s10, 0xebaa3ed8
	s_mov_b32 s18, 0x2ef20147
	v_add_f64 v[2:3], v[14:15], v[2:3]
	s_mov_b32 s11, 0x3fbedb7d
	s_mov_b32 s19, 0xbfedeba7
	v_add_f64 v[149:150], v[18:19], -v[62:63]
	v_add_f64 v[129:130], v[30:31], v[50:51]
	v_mul_f64 v[82:83], v[153:154], s[18:19]
	s_mov_b32 s16, 0xb2365da1
	s_mov_b32 s17, 0xbfd6b1d8
	v_add_f64 v[2:3], v[6:7], v[2:3]
	v_fma_f64 v[6:7], v[125:126], s[10:11], -v[78:79]
	v_add_f64 v[98:99], v[16:17], v[60:61]
	v_add_f64 v[173:174], v[22:23], -v[58:59]
	v_mul_f64 v[88:89], v[149:150], s[20:21]
	v_mul_f64 v[137:138], v[114:115], s[20:21]
	v_add_f64 v[108:109], v[20:21], v[56:57]
	v_add_f64 v[177:178], v[26:27], -v[54:55]
	v_mul_f64 v[112:113], v[139:140], s[18:19]
	v_add_f64 v[2:3], v[6:7], v[2:3]
	v_fma_f64 v[6:7], v[129:130], s[16:17], -v[82:83]
	v_mul_f64 v[94:95], v[173:174], s[18:19]
	s_mov_b32 s42, 0x4bc48dbf
	v_fma_f64 v[8:9], v[100:101], s[6:7], -v[137:138]
	s_mov_b32 s43, 0xbfcea1e5
	v_add_f64 v[123:124], v[24:25], v[52:53]
	v_add_f64 v[183:184], v[30:31], -v[50:51]
	v_fma_f64 v[64:65], v[110:111], s[16:17], -v[112:113]
	v_add_f64 v[2:3], v[6:7], v[2:3]
	v_fma_f64 v[6:7], v[98:99], s[6:7], v[88:89]
	v_fma_f64 v[10:11], v[108:109], s[16:17], v[94:95]
	v_add_f64 v[8:9], v[14:15], v[8:9]
	v_mul_f64 v[96:97], v[177:178], s[42:43]
	v_mul_f64 v[117:118], v[143:144], s[42:43]
	s_mov_b32 s36, 0x24c2f84
	s_mov_b32 s28, 0x93053d00
	;; [unrolled: 1-line block ×3, first 2 shown]
	v_add_f64 v[6:7], v[12:13], v[6:7]
	s_mov_b32 s29, 0xbfef11f4
	v_add_f64 v[127:128], v[28:29], v[48:49]
	v_add_f64 v[185:186], v[34:35], -v[46:47]
	v_add_f64 v[175:176], v[32:33], -v[44:45]
	v_add_f64 v[8:9], v[64:65], v[8:9]
	v_fma_f64 v[64:65], v[125:126], s[28:29], -v[117:118]
	v_mul_f64 v[102:103], v[183:184], s[36:37]
	v_add_f64 v[6:7], v[10:11], v[6:7]
	v_fma_f64 v[10:11], v[123:124], s[28:29], v[96:97]
	v_mul_f64 v[119:120], v[153:154], s[36:37]
	s_mov_b32 s26, 0xd0032e0c
	s_mov_b32 s27, 0xbfe7f3cc
	;; [unrolled: 1-line block ×4, first 2 shown]
	v_mul_f64 v[68:69], v[149:150], s[22:23]
	v_add_f64 v[133:134], v[32:33], v[44:45]
	v_add_f64 v[161:162], v[34:35], v[46:47]
	;; [unrolled: 1-line block ×4, first 2 shown]
	v_fma_f64 v[10:11], v[127:128], s[26:27], v[102:103]
	v_fma_f64 v[64:65], v[129:130], s[26:27], -v[119:120]
	v_mul_f64 v[104:105], v[185:186], s[40:41]
	v_mul_f64 v[121:122], v[175:176], s[40:41]
	;; [unrolled: 1-line block ×4, first 2 shown]
	v_fma_f64 v[0:1], v[98:99], s[4:5], v[68:69]
	v_mul_f64 v[72:73], v[173:174], s[20:21]
	v_add_f64 v[6:7], v[10:11], v[6:7]
	v_add_f64 v[8:9], v[64:65], v[8:9]
	v_fma_f64 v[10:11], v[133:134], s[10:11], v[104:105]
	v_fma_f64 v[64:65], v[161:162], s[10:11], -v[121:122]
	v_fma_f64 v[145:146], v[98:99], s[10:11], v[135:136]
	v_mul_f64 v[141:142], v[173:174], s[42:43]
	v_fma_f64 v[147:148], v[100:101], s[10:11], -v[181:182]
	v_mul_f64 v[179:180], v[139:140], s[42:43]
	v_mul_f64 v[195:196], v[149:150], s[18:19]
	;; [unrolled: 1-line block ×3, first 2 shown]
	s_mov_b32 s45, 0x3fedeba7
	s_mov_b32 s44, s18
	v_add_f64 v[0:1], v[12:13], v[0:1]
	v_fma_f64 v[4:5], v[108:109], s[6:7], v[72:73]
	v_mul_f64 v[76:77], v[177:178], s[30:31]
	v_add_f64 v[6:7], v[10:11], v[6:7]
	v_add_f64 v[64:65], v[64:65], v[8:9]
	;; [unrolled: 1-line block ×3, first 2 shown]
	v_fma_f64 v[10:11], v[108:109], s[28:29], v[141:142]
	v_add_f64 v[147:148], v[14:15], v[147:148]
	v_fma_f64 v[155:156], v[110:111], s[28:29], -v[179:180]
	v_mul_f64 v[145:146], v[177:178], s[44:45]
	v_fma_f64 v[157:158], v[98:99], s[16:17], v[195:196]
	v_mul_f64 v[193:194], v[173:174], s[36:37]
	v_fma_f64 v[167:168], v[100:101], s[16:17], -v[209:210]
	v_mul_f64 v[207:208], v[139:140], s[36:37]
	s_mov_b32 s39, 0x3fddbe06
	s_mov_b32 s38, s22
	v_add_f64 v[0:1], v[4:5], v[0:1]
	v_fma_f64 v[4:5], v[123:124], s[10:11], v[76:77]
	v_mul_f64 v[80:81], v[183:184], s[18:19]
	v_mul_f64 v[151:152], v[143:144], s[44:45]
	v_add_f64 v[8:9], v[10:11], v[8:9]
	v_add_f64 v[10:11], v[155:156], v[147:148]
	v_fma_f64 v[169:170], v[123:124], s[16:17], v[145:146]
	v_mul_f64 v[147:148], v[183:184], s[38:39]
	v_add_f64 v[157:158], v[12:13], v[157:158]
	v_fma_f64 v[189:190], v[108:109], s[26:27], v[193:194]
	v_add_f64 v[167:168], v[14:15], v[167:168]
	v_fma_f64 v[191:192], v[110:111], s[26:27], -v[207:208]
	v_mul_f64 v[199:200], v[177:178], s[38:39]
	v_mul_f64 v[211:212], v[143:144], s[38:39]
	s_mov_b32 s35, 0xbfe5384d
	s_mov_b32 s34, s36
	v_add_f64 v[0:1], v[4:5], v[0:1]
	v_fma_f64 v[4:5], v[127:128], s[16:17], v[80:81]
	v_mul_f64 v[84:85], v[185:186], s[34:35]
	v_fma_f64 v[171:172], v[125:126], s[16:17], -v[151:152]
	v_mul_f64 v[155:156], v[153:154], s[38:39]
	v_add_f64 v[8:9], v[169:170], v[8:9]
	v_fma_f64 v[169:170], v[127:128], s[4:5], v[147:148]
	v_add_f64 v[189:190], v[189:190], v[157:158]
	v_add_f64 v[167:168], v[191:192], v[167:168]
	v_fma_f64 v[191:192], v[123:124], s[4:5], v[199:200]
	v_fma_f64 v[201:202], v[125:126], s[4:5], -v[211:212]
	v_mul_f64 v[197:198], v[183:184], s[30:31]
	v_mul_f64 v[203:204], v[153:154], s[30:31]
	s_mov_b32 s47, 0x3fcea1e5
	s_mov_b32 s46, s42
	v_add_f64 v[0:1], v[4:5], v[0:1]
	v_fma_f64 v[4:5], v[133:134], s[26:27], v[84:85]
	v_mul_f64 v[86:87], v[175:176], s[34:35]
	v_add_f64 v[165:166], v[38:39], -v[42:43]
	v_add_f64 v[187:188], v[36:37], -v[40:41]
	v_add_f64 v[10:11], v[171:172], v[10:11]
	v_fma_f64 v[171:172], v[129:130], s[4:5], -v[155:156]
	v_add_f64 v[8:9], v[169:170], v[8:9]
	v_mul_f64 v[157:158], v[185:186], s[20:21]
	v_mul_f64 v[169:170], v[175:176], s[20:21]
	v_add_f64 v[191:192], v[191:192], v[189:190]
	v_add_f64 v[205:206], v[201:202], v[167:168]
	v_fma_f64 v[221:222], v[127:128], s[10:11], v[197:198]
	v_fma_f64 v[223:224], v[129:130], s[10:11], -v[203:204]
	v_mul_f64 v[189:190], v[185:186], s[46:47]
	v_mul_f64 v[201:202], v[175:176], s[46:47]
	s_mov_b32 s49, 0x3fea55e2
	s_mov_b32 s48, s20
	v_add_f64 v[0:1], v[4:5], v[0:1]
	v_fma_f64 v[4:5], v[161:162], s[26:27], -v[86:87]
	v_add_f64 v[159:160], v[36:37], v[40:41]
	v_mul_f64 v[90:91], v[165:166], s[42:43]
	v_add_f64 v[163:164], v[38:39], v[42:43]
	v_mul_f64 v[92:93], v[187:188], s[42:43]
	v_mul_f64 v[106:107], v[165:166], s[38:39]
	;; [unrolled: 1-line block ×3, first 2 shown]
	v_add_f64 v[10:11], v[171:172], v[10:11]
	v_fma_f64 v[225:226], v[133:134], s[6:7], v[157:158]
	v_fma_f64 v[227:228], v[161:162], s[6:7], -v[169:170]
	v_mul_f64 v[167:168], v[165:166], s[34:35]
	v_mul_f64 v[171:172], v[187:188], s[34:35]
	v_add_f64 v[221:222], v[221:222], v[191:192]
	v_add_f64 v[223:224], v[223:224], v[205:206]
	v_fma_f64 v[229:230], v[133:134], s[28:29], v[189:190]
	v_fma_f64 v[231:232], v[161:162], s[28:29], -v[201:202]
	v_mul_f64 v[191:192], v[165:166], s[48:49]
	v_mul_f64 v[205:206], v[187:188], s[48:49]
	v_add_f64 v[2:3], v[4:5], v[2:3]
	v_fma_f64 v[4:5], v[159:160], s[28:29], v[90:91]
	v_fma_f64 v[66:67], v[163:164], s[28:29], -v[92:93]
	v_fma_f64 v[217:218], v[159:160], s[4:5], v[106:107]
	v_fma_f64 v[219:220], v[163:164], s[4:5], -v[131:132]
	v_add_f64 v[225:226], v[225:226], v[8:9]
	v_add_f64 v[227:228], v[227:228], v[10:11]
	v_fma_f64 v[233:234], v[159:160], s[26:27], v[167:168]
	v_fma_f64 v[235:236], v[163:164], s[26:27], -v[171:172]
	v_add_f64 v[221:222], v[229:230], v[221:222]
	v_add_f64 v[223:224], v[231:232], v[223:224]
	;; [unrolled: 4-line block ×3, first 2 shown]
	v_add_f64 v[4:5], v[217:218], v[6:7]
	v_add_f64 v[6:7], v[219:220], v[64:65]
	;; [unrolled: 1-line block ×6, first 2 shown]
	v_mul_lo_u16_e32 v217, 13, v214
	s_waitcnt lgkmcnt(0)
	; wave barrier
	s_and_saveexec_b64 s[24:25], s[0:1]
	s_cbranch_execz .LBB0_7
; %bb.6:
	v_mul_f64 v[218:219], v[100:101], s[28:29]
	v_mul_f64 v[220:221], v[149:150], s[42:43]
	;; [unrolled: 1-line block ×8, first 2 shown]
	v_fma_f64 v[224:225], v[114:115], s[46:47], v[218:219]
	v_fma_f64 v[228:229], v[98:99], s[28:29], v[220:221]
	;; [unrolled: 1-line block ×6, first 2 shown]
	v_fma_f64 v[220:221], v[98:99], s[28:29], -v[220:221]
	v_mul_f64 v[244:245], v[183:184], s[48:49]
	v_add_f64 v[224:225], v[14:15], v[224:225]
	v_add_f64 v[228:229], v[12:13], v[228:229]
	v_fma_f64 v[222:223], v[139:140], s[38:39], v[222:223]
	v_fma_f64 v[226:227], v[108:109], s[4:5], -v[226:227]
	v_add_f64 v[218:219], v[14:15], v[218:219]
	v_mul_f64 v[230:231], v[163:164], s[10:11]
	v_add_f64 v[220:221], v[12:13], v[220:221]
	v_fma_f64 v[232:233], v[143:144], s[34:35], v[232:233]
	v_add_f64 v[224:225], v[238:239], v[224:225]
	v_fma_f64 v[238:239], v[123:124], s[26:27], v[234:235]
	v_add_f64 v[228:229], v[240:241], v[228:229]
	v_mul_f64 v[240:241], v[185:186], s[18:19]
	v_add_f64 v[218:219], v[222:223], v[218:219]
	v_mul_f64 v[222:223], v[165:166], s[40:41]
	v_add_f64 v[220:221], v[226:227], v[220:221]
	v_fma_f64 v[226:227], v[175:176], s[44:45], v[236:237]
	v_add_f64 v[224:225], v[246:247], v[224:225]
	v_fma_f64 v[246:247], v[153:154], s[20:21], v[242:243]
	;; [unrolled: 2-line block ×3, first 2 shown]
	v_add_f64 v[232:233], v[232:233], v[218:219]
	v_mul_f64 v[149:150], v[149:150], s[34:35]
	v_fma_f64 v[218:219], v[123:124], s[26:27], -v[234:235]
	v_mul_f64 v[248:249], v[100:101], s[26:27]
	v_fma_f64 v[234:235], v[159:160], s[10:11], v[222:223]
	v_add_f64 v[224:225], v[246:247], v[224:225]
	v_fma_f64 v[246:247], v[133:134], s[16:17], v[240:241]
	v_add_f64 v[228:229], v[238:239], v[228:229]
	v_mul_f64 v[173:174], v[173:174], s[40:41]
	v_fma_f64 v[242:243], v[153:154], s[48:49], v[242:243]
	v_fma_f64 v[244:245], v[127:128], s[6:7], -v[244:245]
	v_mul_f64 v[238:239], v[110:111], s[10:11]
	v_fma_f64 v[250:251], v[114:115], s[36:37], v[248:249]
	v_add_f64 v[224:225], v[226:227], v[224:225]
	v_fma_f64 v[226:227], v[187:188], s[30:31], v[230:231]
	v_add_f64 v[228:229], v[246:247], v[228:229]
	v_add_f64 v[246:247], v[218:219], v[220:221]
	v_mul_f64 v[177:178], v[177:178], s[20:21]
	v_fma_f64 v[230:231], v[187:188], s[40:41], v[230:231]
	v_mul_f64 v[183:184], v[183:184], s[46:47]
	v_fma_f64 v[114:115], v[114:115], s[34:35], v[248:249]
	v_fma_f64 v[240:241], v[133:134], s[16:17], -v[240:241]
	v_add_f64 v[220:221], v[226:227], v[224:225]
	v_fma_f64 v[224:225], v[98:99], s[26:27], v[149:150]
	v_add_f64 v[218:219], v[234:235], v[228:229]
	v_fma_f64 v[226:227], v[175:176], s[18:19], v[236:237]
	v_add_f64 v[228:229], v[242:243], v[232:233]
	v_add_f64 v[242:243], v[244:245], v[246:247]
	v_fma_f64 v[244:245], v[108:109], s[10:11], v[173:174]
	v_mul_f64 v[232:233], v[125:126], s[6:7]
	v_fma_f64 v[234:235], v[139:140], s[30:31], v[238:239]
	v_add_f64 v[224:225], v[12:13], v[224:225]
	v_add_f64 v[236:237], v[14:15], v[250:251]
	v_fma_f64 v[246:247], v[123:124], s[6:7], v[177:178]
	v_add_f64 v[226:227], v[226:227], v[228:229]
	v_mul_f64 v[228:229], v[129:130], s[28:29]
	v_fma_f64 v[139:140], v[139:140], s[40:41], v[238:239]
	v_add_f64 v[114:115], v[14:15], v[114:115]
	v_add_f64 v[240:241], v[240:241], v[242:243]
	;; [unrolled: 1-line block ×4, first 2 shown]
	v_fma_f64 v[236:237], v[143:144], s[48:49], v[232:233]
	v_add_f64 v[224:225], v[230:231], v[226:227]
	v_fma_f64 v[230:231], v[127:128], s[28:29], v[183:184]
	v_mul_f64 v[242:243], v[161:162], s[4:5]
	v_fma_f64 v[149:150], v[98:99], s[26:27], -v[149:150]
	v_fma_f64 v[143:144], v[143:144], s[20:21], v[232:233]
	v_add_f64 v[226:227], v[246:247], v[244:245]
	v_mul_f64 v[244:245], v[100:101], s[4:5]
	v_add_f64 v[234:235], v[236:237], v[234:235]
	v_fma_f64 v[236:237], v[153:154], s[42:43], v[228:229]
	v_mul_f64 v[232:233], v[100:101], s[10:11]
	v_add_f64 v[114:115], v[139:140], v[114:115]
	v_fma_f64 v[222:223], v[159:160], s[10:11], -v[222:223]
	v_fma_f64 v[246:247], v[175:176], s[22:23], v[242:243]
	v_add_f64 v[226:227], v[230:231], v[226:227]
	v_mul_f64 v[230:231], v[100:101], s[6:7]
	v_mul_f64 v[100:101], v[100:101], s[16:17]
	v_add_f64 v[234:235], v[236:237], v[234:235]
	v_mul_f64 v[185:186], v[185:186], s[38:39]
	v_fma_f64 v[173:174], v[108:109], s[10:11], -v[173:174]
	v_add_f64 v[149:150], v[12:13], v[149:150]
	v_fma_f64 v[153:154], v[153:154], s[46:47], v[228:229]
	v_add_f64 v[114:115], v[143:144], v[114:115]
	v_add_f64 v[222:223], v[222:223], v[240:241]
	;; [unrolled: 1-line block ×3, first 2 shown]
	v_mul_f64 v[209:210], v[110:111], s[26:27]
	v_mul_f64 v[240:241], v[98:99], s[4:5]
	;; [unrolled: 1-line block ×4, first 2 shown]
	v_add_f64 v[234:235], v[246:247], v[234:235]
	v_fma_f64 v[246:247], v[133:134], s[4:5], v[185:186]
	v_mul_f64 v[98:99], v[98:99], s[16:17]
	v_mul_f64 v[139:140], v[163:164], s[16:17]
	v_add_f64 v[149:150], v[173:174], v[149:150]
	v_fma_f64 v[177:178], v[123:124], s[6:7], -v[177:178]
	v_add_f64 v[114:115], v[153:154], v[114:115]
	v_fma_f64 v[153:154], v[127:128], s[28:29], -v[183:184]
	v_mul_f64 v[183:184], v[125:126], s[4:5]
	v_add_f64 v[207:208], v[207:208], v[209:210]
	v_add_f64 v[100:101], v[14:15], v[100:101]
	;; [unrolled: 1-line block ×3, first 2 shown]
	v_mul_f64 v[246:247], v[108:109], s[6:7]
	v_fma_f64 v[143:144], v[187:188], s[44:45], v[139:140]
	v_fma_f64 v[139:140], v[187:188], s[18:19], v[139:140]
	v_mul_f64 v[187:188], v[108:109], s[16:17]
	v_fma_f64 v[175:176], v[175:176], s[38:39], v[242:243]
	v_mul_f64 v[242:243], v[108:109], s[28:29]
	v_mul_f64 v[108:109], v[108:109], s[26:27]
	v_add_f64 v[149:150], v[177:178], v[149:150]
	v_add_f64 v[183:184], v[211:212], v[183:184]
	v_mul_f64 v[211:212], v[129:130], s[10:11]
	v_add_f64 v[100:101], v[207:208], v[100:101]
	v_add_f64 v[98:99], v[98:99], -v[195:196]
	v_mul_f64 v[177:178], v[123:124], s[10:11]
	v_add_f64 v[114:115], v[175:176], v[114:115]
	v_mul_f64 v[175:176], v[123:124], s[28:29]
	v_add_f64 v[149:150], v[153:154], v[149:150]
	v_mul_f64 v[207:208], v[123:124], s[16:17]
	v_fma_f64 v[185:186], v[133:134], s[4:5], -v[185:186]
	v_mul_f64 v[123:124], v[123:124], s[4:5]
	v_add_f64 v[203:204], v[203:204], v[211:212]
	v_mul_f64 v[211:212], v[161:162], s[28:29]
	v_add_f64 v[100:101], v[183:184], v[100:101]
	v_add_f64 v[108:109], v[108:109], -v[193:194]
	v_add_f64 v[98:99], v[12:13], v[98:99]
	v_mul_f64 v[195:196], v[127:128], s[16:17]
	v_add_f64 v[149:150], v[185:186], v[149:150]
	v_mul_f64 v[185:186], v[127:128], s[26:27]
	v_add_f64 v[123:124], v[123:124], -v[199:200]
	v_add_f64 v[201:202], v[201:202], v[211:212]
	v_mul_f64 v[211:212], v[163:164], s[6:7]
	v_mul_f64 v[199:200], v[127:128], s[4:5]
	;; [unrolled: 1-line block ×3, first 2 shown]
	v_add_f64 v[98:99], v[108:109], v[98:99]
	v_add_f64 v[100:101], v[203:204], v[100:101]
	v_mul_f64 v[228:229], v[110:111], s[6:7]
	v_mul_f64 v[173:174], v[110:111], s[16:17]
	;; [unrolled: 1-line block ×3, first 2 shown]
	v_add_f64 v[205:206], v[205:206], v[211:212]
	v_add_f64 v[181:182], v[181:182], v[232:233]
	v_add_f64 v[108:109], v[127:128], -v[197:198]
	v_add_f64 v[98:99], v[123:124], v[98:99]
	v_add_f64 v[100:101], v[201:202], v[100:101]
	;; [unrolled: 1-line block ×4, first 2 shown]
	v_mul_f64 v[209:210], v[125:126], s[10:11]
	v_mul_f64 v[153:154], v[125:126], s[28:29]
	;; [unrolled: 1-line block ×3, first 2 shown]
	v_add_f64 v[110:111], v[179:180], v[110:111]
	v_add_f64 v[232:233], v[108:109], v[98:99]
	;; [unrolled: 1-line block ×8, first 2 shown]
	v_mul_f64 v[183:184], v[129:130], s[16:17]
	v_mul_f64 v[193:194], v[129:130], s[26:27]
	;; [unrolled: 1-line block ×3, first 2 shown]
	v_add_f64 v[125:126], v[151:152], v[125:126]
	v_add_f64 v[135:136], v[238:239], -v[135:136]
	v_add_f64 v[110:111], v[110:111], v[139:140]
	v_add_f64 v[112:113], v[112:113], v[173:174]
	;; [unrolled: 1-line block ×5, first 2 shown]
	v_mul_f64 v[203:204], v[161:162], s[26:27]
	v_mul_f64 v[127:128], v[161:162], s[10:11]
	;; [unrolled: 1-line block ×3, first 2 shown]
	v_add_f64 v[20:21], v[155:156], v[129:130]
	v_add_f64 v[22:23], v[242:243], -v[141:142]
	v_add_f64 v[129:130], v[12:13], v[135:136]
	v_add_f64 v[110:111], v[125:126], v[110:111]
	;; [unrolled: 1-line block ×7, first 2 shown]
	v_add_f64 v[26:27], v[207:208], -v[145:146]
	v_add_f64 v[22:23], v[22:23], v[129:130]
	v_add_f64 v[20:21], v[20:21], v[110:111]
	;; [unrolled: 1-line block ×7, first 2 shown]
	v_mul_f64 v[248:249], v[133:134], s[26:27]
	v_add_f64 v[22:23], v[26:27], v[22:23]
	v_add_f64 v[20:21], v[24:25], v[20:21]
	v_add_f64 v[24:25], v[121:122], v[127:128]
	v_add_f64 v[26:27], v[110:111], v[100:101]
	v_add_f64 v[18:19], v[18:19], v[38:39]
	v_add_f64 v[16:17], v[16:17], v[36:37]
	v_add_f64 v[36:37], v[236:237], -v[88:89]
	v_add_f64 v[14:15], v[14:15], v[70:71]
	v_add_f64 v[70:71], v[246:247], -v[72:73]
	v_add_f64 v[38:39], v[187:188], -v[94:95]
	v_mul_f64 v[123:124], v[133:134], s[28:29]
	v_add_f64 v[24:25], v[24:25], v[26:27]
	v_add_f64 v[26:27], v[240:241], -v[68:69]
	v_add_f64 v[18:19], v[18:19], v[42:43]
	v_add_f64 v[16:17], v[16:17], v[40:41]
	;; [unrolled: 1-line block ×4, first 2 shown]
	v_add_f64 v[42:43], v[177:178], -v[76:77]
	v_mul_f64 v[211:212], v[133:134], s[10:11]
	v_mul_f64 v[133:134], v[133:134], s[6:7]
	v_add_f64 v[26:27], v[12:13], v[26:27]
	v_add_f64 v[12:13], v[12:13], v[36:37]
	;; [unrolled: 1-line block ×5, first 2 shown]
	v_add_f64 v[36:37], v[175:176], -v[96:97]
	v_add_f64 v[44:45], v[82:83], v[183:184]
	v_mul_f64 v[201:202], v[159:160], s[6:7]
	v_add_f64 v[26:27], v[70:71], v[26:27]
	v_add_f64 v[12:13], v[38:39], v[12:13]
	;; [unrolled: 1-line block ×5, first 2 shown]
	v_add_f64 v[40:41], v[195:196], -v[80:81]
	v_add_f64 v[38:39], v[185:186], -v[102:103]
	v_mul_f64 v[165:166], v[165:166], s[18:19]
	v_add_f64 v[26:27], v[42:43], v[26:27]
	v_add_f64 v[12:13], v[36:37], v[12:13]
	v_add_f64 v[30:31], v[199:200], -v[147:148]
	v_mul_f64 v[179:180], v[163:164], s[4:5]
	v_add_f64 v[18:19], v[18:19], v[54:55]
	v_add_f64 v[16:17], v[16:17], v[52:53]
	v_mul_f64 v[197:198], v[159:160], s[28:29]
	v_add_f64 v[123:124], v[123:124], -v[189:190]
	v_mul_f64 v[189:190], v[163:164], s[28:29]
	v_mul_f64 v[163:164], v[163:164], s[26:27]
	v_add_f64 v[42:43], v[86:87], v[203:204]
	v_add_f64 v[14:15], v[44:45], v[14:15]
	v_add_f64 v[44:45], v[248:249], -v[84:85]
	v_add_f64 v[26:27], v[40:41], v[26:27]
	v_mul_f64 v[250:251], v[159:160], s[4:5]
	v_add_f64 v[36:37], v[211:212], -v[104:105]
	v_add_f64 v[12:13], v[38:39], v[12:13]
	v_add_f64 v[191:192], v[201:202], -v[191:192]
	v_fma_f64 v[201:202], v[159:160], s[16:17], v[165:166]
	v_fma_f64 v[165:166], v[159:160], s[16:17], -v[165:166]
	v_mul_f64 v[159:160], v[159:160], s[26:27]
	v_add_f64 v[34:35], v[133:134], -v[157:158]
	v_add_f64 v[22:23], v[30:31], v[22:23]
	v_add_f64 v[30:31], v[131:132], v[179:180]
	;; [unrolled: 1-line block ×7, first 2 shown]
	v_add_f64 v[46:47], v[197:198], -v[90:91]
	v_add_f64 v[44:45], v[44:45], v[26:27]
	v_add_f64 v[38:39], v[250:251], -v[106:107]
	v_add_f64 v[12:13], v[36:37], v[12:13]
	;; [unrolled: 2-line block ×3, first 2 shown]
	v_add_f64 v[123:124], v[123:124], v[232:233]
	v_add_f64 v[18:19], v[30:31], v[24:25]
	;; [unrolled: 1-line block ×11, first 2 shown]
	v_add_lshl_u32 v28, v215, v217, 4
	v_add_f64 v[98:99], v[143:144], v[234:235]
	v_add_f64 v[96:97], v[201:202], v[226:227]
	ds_write_b128 v28, v[24:27]
	ds_write_b128 v28, v[20:23] offset:16
	ds_write_b128 v28, v[16:19] offset:32
	;; [unrolled: 1-line block ×12, first 2 shown]
.LBB0_7:
	s_or_b64 exec, exec, s[24:25]
	v_add_co_u32_e32 v44, vcc, -13, v214
	s_load_dwordx4 s[4:7], s[2:3], 0x0
	v_addc_co_u32_e64 v45, s[2:3], 0, -1, vcc
	v_cmp_gt_u16_e64 s[2:3], 13, v214
	v_cndmask_b32_e64 v63, v45, 0, s[2:3]
	v_cndmask_b32_e64 v62, v44, v214, s[2:3]
	v_lshlrev_b64 v[12:13], 7, v[62:63]
	v_mov_b32_e32 v14, s9
	v_add_co_u32_e32 v46, vcc, s8, v12
	v_addc_co_u32_e32 v47, vcc, v14, v13, vcc
	s_waitcnt lgkmcnt(0)
	; wave barrier
	s_waitcnt lgkmcnt(0)
	global_load_dwordx4 v[24:27], v[46:47], off
	global_load_dwordx4 v[20:23], v[46:47], off offset:16
	global_load_dwordx4 v[16:19], v[46:47], off offset:32
	global_load_dwordx4 v[12:15], v[46:47], off offset:48
	global_load_dwordx4 v[32:35], v[46:47], off offset:64
	global_load_dwordx4 v[28:31], v[46:47], off offset:80
	global_load_dwordx4 v[36:39], v[46:47], off offset:96
	global_load_dwordx4 v[40:43], v[46:47], off offset:112
	v_add_lshl_u32 v188, v215, v214, 4
	ds_read_b128 v[46:49], v188
	ds_read_b128 v[50:53], v188 offset:416
	ds_read_b128 v[54:57], v188 offset:832
	;; [unrolled: 1-line block ×8, first 2 shown]
	s_mov_b32 s24, 0xa2cf5039
	s_mov_b32 s17, 0x3fe491b7
	s_mov_b32 s16, 0x523c161c
	s_mov_b32 s25, 0x3fe8836f
	s_mov_b32 s28, 0x8c811c17
	s_mov_b32 s22, 0x7e0b738b
	s_mov_b32 s29, 0x3fef838b
	s_mov_b32 s23, 0x3fc63a1a
	s_mov_b32 s10, 0xe8584cab
	s_mov_b32 s11, 0x3febb67a
	s_mov_b32 s18, 0x748a0bf8
	s_mov_b32 s20, 0x42522d1b
	s_mov_b32 s19, 0x3fd5e3a8
	s_mov_b32 s21, 0xbfee11f6
	s_mov_b32 s27, 0xbfebb67a
	s_mov_b32 s26, s10
	v_mov_b32_e32 v63, 0x75
	v_cmp_lt_u16_e32 vcc, 12, v214
	v_cndmask_b32_e32 v63, 0, v63, vcc
	v_add_u32_e32 v62, v62, v63
	v_add_lshl_u32 v189, v215, v62, 4
	s_waitcnt lgkmcnt(0)
	; wave barrier
	s_waitcnt vmcnt(7) lgkmcnt(0)
	v_mul_f64 v[88:89], v[52:53], v[26:27]
	v_mul_f64 v[90:91], v[50:51], v[26:27]
	s_waitcnt vmcnt(6)
	v_mul_f64 v[92:93], v[56:57], v[22:23]
	v_mul_f64 v[94:95], v[54:55], v[22:23]
	s_waitcnt vmcnt(5)
	v_mul_f64 v[96:97], v[60:61], v[18:19]
	s_waitcnt vmcnt(4)
	v_mul_f64 v[100:101], v[70:71], v[14:15]
	v_mul_f64 v[102:103], v[68:69], v[14:15]
	s_waitcnt vmcnt(0)
	v_mul_f64 v[117:118], v[86:87], v[42:43]
	v_mul_f64 v[119:120], v[84:85], v[42:43]
	;; [unrolled: 1-line block ×7, first 2 shown]
	v_fma_f64 v[50:51], v[50:51], v[24:25], -v[88:89]
	v_fma_f64 v[52:53], v[52:53], v[24:25], v[90:91]
	v_fma_f64 v[84:85], v[84:85], v[40:41], -v[117:118]
	v_fma_f64 v[86:87], v[86:87], v[40:41], v[119:120]
	v_mul_f64 v[98:99], v[58:59], v[18:19]
	v_mul_f64 v[110:111], v[76:77], v[30:31]
	v_fma_f64 v[54:55], v[54:55], v[20:21], -v[92:93]
	v_fma_f64 v[56:57], v[56:57], v[20:21], v[94:95]
	v_fma_f64 v[58:59], v[58:59], v[16:17], -v[96:97]
	v_fma_f64 v[68:69], v[68:69], v[12:13], -v[100:101]
	v_fma_f64 v[70:71], v[70:71], v[12:13], v[102:103]
	v_fma_f64 v[80:81], v[80:81], v[36:37], -v[112:113]
	v_fma_f64 v[82:83], v[82:83], v[36:37], v[114:115]
	v_fma_f64 v[76:77], v[76:77], v[28:29], -v[108:109]
	v_fma_f64 v[72:73], v[72:73], v[32:33], -v[104:105]
	v_fma_f64 v[74:75], v[74:75], v[32:33], v[106:107]
	v_add_f64 v[88:89], v[50:51], v[84:85]
	v_add_f64 v[90:91], v[52:53], v[86:87]
	v_add_f64 v[84:85], v[50:51], -v[84:85]
	v_add_f64 v[86:87], v[52:53], -v[86:87]
	v_fma_f64 v[60:61], v[60:61], v[16:17], v[98:99]
	v_fma_f64 v[78:79], v[78:79], v[28:29], v[110:111]
	v_add_f64 v[92:93], v[54:55], v[80:81]
	v_add_f64 v[94:95], v[56:57], v[82:83]
	;; [unrolled: 1-line block ×3, first 2 shown]
	v_add_f64 v[54:55], v[54:55], -v[80:81]
	v_add_f64 v[56:57], v[56:57], -v[82:83]
	;; [unrolled: 1-line block ×3, first 2 shown]
	v_add_f64 v[76:77], v[68:69], v[72:73]
	v_add_f64 v[52:53], v[70:71], -v[74:75]
	v_mul_f64 v[80:81], v[84:85], s[16:17]
	v_mul_f64 v[82:83], v[86:87], s[16:17]
	v_fma_f64 v[100:101], v[88:89], s[24:25], v[46:47]
	v_add_f64 v[98:99], v[60:61], v[78:79]
	v_add_f64 v[60:61], v[60:61], -v[78:79]
	v_add_f64 v[50:51], v[68:69], -v[72:73]
	v_add_f64 v[78:79], v[70:71], v[74:75]
	s_mov_b32 s17, 0xbfe491b7
	v_fma_f64 v[102:103], v[90:91], s[24:25], v[48:49]
	v_fma_f64 v[104:105], v[76:77], s[24:25], v[46:47]
	v_mul_f64 v[125:126], v[52:53], s[16:17]
	v_fma_f64 v[80:81], v[54:55], s[28:29], v[80:81]
	v_fma_f64 v[82:83], v[56:57], s[28:29], v[82:83]
	;; [unrolled: 1-line block ×4, first 2 shown]
	v_mul_f64 v[123:124], v[50:51], s[16:17]
	v_fma_f64 v[102:103], v[94:95], s[22:23], v[102:103]
	v_fma_f64 v[104:105], v[88:89], s[22:23], v[104:105]
	;; [unrolled: 1-line block ×5, first 2 shown]
	v_fma_f64 v[100:101], v[96:97], -0.5, v[100:101]
	v_fma_f64 v[106:107], v[90:91], s[22:23], v[106:107]
	v_fma_f64 v[123:124], v[84:85], s[28:29], v[123:124]
	v_add_f64 v[108:109], v[50:51], v[84:85]
	v_mul_f64 v[119:120], v[50:51], s[28:29]
	v_fma_f64 v[102:103], v[98:99], -0.5, v[102:103]
	v_fma_f64 v[104:105], v[96:97], -0.5, v[104:105]
	v_fma_f64 v[125:126], v[60:61], s[26:27], v[125:126]
	v_fma_f64 v[80:81], v[50:51], s[18:19], v[80:81]
	v_fma_f64 v[82:83], v[52:53], s[18:19], v[82:83]
	v_fma_f64 v[50:51], v[76:77], s[20:21], v[100:101]
	v_fma_f64 v[106:107], v[98:99], -0.5, v[106:107]
	v_fma_f64 v[123:124], v[58:59], s[26:27], v[123:124]
	v_add_f64 v[110:111], v[52:53], v[86:87]
	v_add_f64 v[114:115], v[92:93], v[88:89]
	v_mul_f64 v[121:122], v[52:53], s[28:29]
	v_fma_f64 v[52:53], v[78:79], s[20:21], v[102:103]
	v_fma_f64 v[127:128], v[92:93], s[24:25], v[46:47]
	;; [unrolled: 1-line block ×5, first 2 shown]
	v_add_f64 v[50:51], v[82:83], v[50:51]
	v_add_f64 v[117:118], v[94:95], v[90:91]
	v_fma_f64 v[94:95], v[94:95], s[20:21], v[106:107]
	v_fma_f64 v[106:107], v[54:55], s[18:19], v[123:124]
	v_add_f64 v[52:53], v[52:53], -v[80:81]
	v_add_f64 v[108:109], v[108:109], -v[54:55]
	v_fma_f64 v[119:120], v[54:55], s[16:17], -v[119:120]
	v_fma_f64 v[121:122], v[56:57], s[16:17], -v[121:122]
	v_add_f64 v[54:55], v[104:105], v[92:93]
	v_fma_f64 v[100:101], v[82:83], -2.0, v[50:51]
	v_fma_f64 v[82:83], v[76:77], s[22:23], v[127:128]
	v_fma_f64 v[92:93], v[78:79], s[22:23], v[129:130]
	v_add_f64 v[110:111], v[110:111], -v[56:57]
	v_add_f64 v[56:57], v[94:95], -v[106:107]
	v_add_f64 v[76:77], v[76:77], v[114:115]
	v_add_f64 v[94:95], v[96:97], v[114:115]
	;; [unrolled: 1-line block ×3, first 2 shown]
	v_fma_f64 v[102:103], v[80:81], 2.0, v[52:53]
	v_add_f64 v[80:81], v[48:49], v[98:99]
	v_add_f64 v[78:79], v[78:79], v[117:118]
	v_fma_f64 v[58:59], v[58:59], s[10:11], v[119:120]
	v_fma_f64 v[60:61], v[60:61], s[10:11], v[121:122]
	v_fma_f64 v[82:83], v[96:97], -0.5, v[82:83]
	v_fma_f64 v[92:93], v[98:99], -0.5, v[92:93]
	v_add_f64 v[112:113], v[46:47], v[96:97]
	v_add_f64 v[68:69], v[68:69], v[94:95]
	;; [unrolled: 1-line block ×3, first 2 shown]
	v_fma_f64 v[78:79], v[78:79], -0.5, v[80:81]
	v_fma_f64 v[84:85], v[84:85], s[18:19], v[58:59]
	v_fma_f64 v[80:81], v[86:87], s[18:19], v[60:61]
	;; [unrolled: 1-line block ×4, first 2 shown]
	v_fma_f64 v[76:77], v[76:77], -0.5, v[112:113]
	v_add_f64 v[92:93], v[72:73], v[68:69]
	v_add_f64 v[94:95], v[74:75], v[70:71]
	v_mul_f64 v[88:89], v[108:109], s[10:11]
	v_mul_f64 v[90:91], v[110:111], s[10:11]
	v_fma_f64 v[60:61], v[108:109], s[26:27], v[78:79]
	v_add_f64 v[68:69], v[80:81], v[82:83]
	v_add_f64 v[70:71], v[86:87], -v[84:85]
	v_fma_f64 v[58:59], v[110:111], s[10:11], v[76:77]
	v_add_f64 v[46:47], v[46:47], v[92:93]
	v_add_f64 v[48:49], v[48:49], v[94:95]
	v_fma_f64 v[72:73], v[104:105], -2.0, v[54:55]
	v_fma_f64 v[74:75], v[106:107], 2.0, v[56:57]
	v_fma_f64 v[78:79], v[88:89], 2.0, v[60:61]
	v_fma_f64 v[80:81], v[80:81], -2.0, v[68:69]
	v_fma_f64 v[82:83], v[84:85], 2.0, v[70:71]
	v_fma_f64 v[76:77], v[90:91], -2.0, v[58:59]
	ds_write_b128 v189, v[46:49]
	ds_write_b128 v189, v[50:53] offset:208
	ds_write_b128 v189, v[54:57] offset:416
	;; [unrolled: 1-line block ×8, first 2 shown]
	s_waitcnt lgkmcnt(0)
	; wave barrier
	s_waitcnt lgkmcnt(0)
	ds_read_b128 v[76:79], v188
	ds_read_b128 v[84:87], v188 offset:416
	ds_read_b128 v[72:75], v188 offset:1872
	ds_read_b128 v[68:71], v188 offset:2288
	ds_read_b128 v[92:95], v188 offset:832
	ds_read_b128 v[104:107], v188 offset:1248
	ds_read_b128 v[88:91], v188 offset:2704
	ds_read_b128 v[80:83], v188 offset:3120
	s_and_saveexec_b64 s[10:11], s[2:3]
	s_cbranch_execz .LBB0_9
; %bb.8:
	ds_read_b128 v[100:103], v188 offset:1664
	ds_read_b128 v[64:67], v188 offset:3536
	v_add_co_u32_e32 v44, vcc, 0x68, v214
	v_addc_co_u32_e64 v45, s[16:17], 0, 0, vcc
.LBB0_9:
	s_or_b64 exec, exec, s[10:11]
	v_lshlrev_b64 v[44:45], 4, v[44:45]
	v_mov_b32_e32 v46, s9
	v_add_co_u32_e32 v44, vcc, s8, v44
	v_addc_co_u32_e32 v45, vcc, v46, v45, vcc
	global_load_dwordx4 v[48:51], v213, s[8:9] offset:1664
	global_load_dwordx4 v[52:55], v213, s[8:9] offset:2080
	;; [unrolled: 1-line block ×4, first 2 shown]
	v_lshl_add_u32 v187, v214, 4, v216
	global_load_dwordx4 v[44:47], v[44:45], off offset:1664
	v_add_u32_e32 v190, v213, v216
	s_waitcnt vmcnt(4) lgkmcnt(5)
	v_mul_f64 v[96:97], v[74:75], v[50:51]
	v_mul_f64 v[98:99], v[72:73], v[50:51]
	s_waitcnt vmcnt(3) lgkmcnt(4)
	v_mul_f64 v[108:109], v[70:71], v[54:55]
	v_mul_f64 v[110:111], v[68:69], v[54:55]
	;; [unrolled: 3-line block ×4, first 2 shown]
	s_waitcnt vmcnt(0)
	v_mul_f64 v[121:122], v[66:67], v[46:47]
	v_mul_f64 v[123:124], v[64:65], v[46:47]
	v_fma_f64 v[72:73], v[72:73], v[48:49], -v[96:97]
	v_fma_f64 v[74:75], v[74:75], v[48:49], v[98:99]
	v_fma_f64 v[96:97], v[68:69], v[52:53], -v[108:109]
	v_fma_f64 v[98:99], v[70:71], v[52:53], v[110:111]
	;; [unrolled: 2-line block ×5, first 2 shown]
	v_add_f64 v[68:69], v[76:77], -v[72:73]
	v_add_f64 v[70:71], v[78:79], -v[74:75]
	;; [unrolled: 1-line block ×10, first 2 shown]
	v_fma_f64 v[64:65], v[76:77], 2.0, -v[68:69]
	v_fma_f64 v[66:67], v[78:79], 2.0, -v[70:71]
	;; [unrolled: 1-line block ×10, first 2 shown]
	ds_write_b128 v187, v[68:71] offset:1872
	ds_write_b128 v187, v[72:75] offset:2288
	ds_write_b128 v187, v[64:67]
	ds_write_b128 v187, v[76:79] offset:416
	ds_write_b128 v187, v[84:87] offset:832
	;; [unrolled: 1-line block ×5, first 2 shown]
	s_and_saveexec_b64 s[8:9], s[2:3]
	s_cbranch_execz .LBB0_11
; %bb.10:
	ds_write_b128 v187, v[100:103] offset:1664
	ds_write_b128 v187, v[96:99] offset:3536
.LBB0_11:
	s_or_b64 exec, exec, s[8:9]
	s_waitcnt lgkmcnt(0)
	; wave barrier
	s_waitcnt lgkmcnt(0)
	s_and_saveexec_b64 s[8:9], s[0:1]
	s_cbranch_execz .LBB0_13
; %bb.12:
	global_load_dwordx4 v[104:107], v213, s[12:13] offset:3744
	s_add_u32 s10, s12, 0xea0
	s_addc_u32 s11, s13, 0
	global_load_dwordx4 v[108:111], v213, s[10:11] offset:288
	global_load_dwordx4 v[112:115], v213, s[10:11] offset:576
	;; [unrolled: 1-line block ×12, first 2 shown]
	ds_read_b128 v[157:160], v187
	ds_read_b128 v[161:164], v187 offset:288
	ds_read_b128 v[165:168], v187 offset:576
	ds_read_b128 v[169:172], v187 offset:864
	ds_read_b128 v[173:176], v187 offset:1152
	ds_read_b128 v[177:180], v187 offset:1440
	ds_read_b128 v[181:184], v187 offset:1728
	ds_read_b128 v[191:194], v187 offset:2016
	ds_read_b128 v[195:198], v187 offset:2304
	ds_read_b128 v[199:202], v187 offset:2592
	ds_read_b128 v[203:206], v187 offset:2880
	ds_read_b128 v[207:210], v187 offset:3168
	ds_read_b128 v[218:221], v187 offset:3456
	s_waitcnt vmcnt(11) lgkmcnt(11)
	v_mul_f64 v[211:212], v[163:164], v[110:111]
	v_mul_f64 v[110:111], v[161:162], v[110:111]
	s_waitcnt vmcnt(10) lgkmcnt(10)
	v_mul_f64 v[222:223], v[167:168], v[114:115]
	v_mul_f64 v[114:115], v[165:166], v[114:115]
	;; [unrolled: 3-line block ×4, first 2 shown]
	v_mul_f64 v[185:186], v[159:160], v[106:107]
	v_mul_f64 v[106:107], v[157:158], v[106:107]
	s_waitcnt vmcnt(7) lgkmcnt(7)
	v_mul_f64 v[228:229], v[179:180], v[127:128]
	v_mul_f64 v[127:128], v[177:178], v[127:128]
	s_waitcnt vmcnt(6) lgkmcnt(6)
	;; [unrolled: 3-line block ×8, first 2 shown]
	v_mul_f64 v[242:243], v[220:221], v[155:156]
	v_mul_f64 v[244:245], v[218:219], v[155:156]
	v_fma_f64 v[155:156], v[157:158], v[104:105], -v[185:186]
	v_fma_f64 v[157:158], v[159:160], v[104:105], v[106:107]
	v_fma_f64 v[104:105], v[161:162], v[108:109], -v[211:212]
	v_fma_f64 v[106:107], v[163:164], v[108:109], v[110:111]
	v_fma_f64 v[108:109], v[165:166], v[112:113], -v[222:223]
	v_fma_f64 v[110:111], v[167:168], v[112:113], v[114:115]
	v_fma_f64 v[112:113], v[169:170], v[117:118], -v[224:225]
	v_fma_f64 v[114:115], v[171:172], v[117:118], v[119:120]
	v_fma_f64 v[117:118], v[173:174], v[121:122], -v[226:227]
	v_fma_f64 v[119:120], v[175:176], v[121:122], v[123:124]
	v_fma_f64 v[121:122], v[177:178], v[125:126], -v[228:229]
	v_fma_f64 v[123:124], v[179:180], v[125:126], v[127:128]
	v_fma_f64 v[125:126], v[181:182], v[129:130], -v[230:231]
	v_fma_f64 v[127:128], v[183:184], v[129:130], v[131:132]
	v_fma_f64 v[129:130], v[191:192], v[133:134], -v[232:233]
	v_fma_f64 v[131:132], v[193:194], v[133:134], v[135:136]
	v_fma_f64 v[133:134], v[195:196], v[137:138], -v[234:235]
	v_fma_f64 v[135:136], v[197:198], v[137:138], v[139:140]
	v_fma_f64 v[137:138], v[199:200], v[141:142], -v[236:237]
	v_fma_f64 v[139:140], v[201:202], v[141:142], v[143:144]
	v_fma_f64 v[141:142], v[203:204], v[145:146], -v[238:239]
	v_fma_f64 v[143:144], v[205:206], v[145:146], v[147:148]
	v_fma_f64 v[145:146], v[207:208], v[149:150], -v[240:241]
	v_fma_f64 v[147:148], v[209:210], v[149:150], v[151:152]
	v_fma_f64 v[149:150], v[218:219], v[153:154], -v[242:243]
	v_fma_f64 v[151:152], v[220:221], v[153:154], v[244:245]
	ds_write_b128 v187, v[155:158]
	ds_write_b128 v187, v[104:107] offset:288
	ds_write_b128 v187, v[108:111] offset:576
	;; [unrolled: 1-line block ×12, first 2 shown]
.LBB0_13:
	s_or_b64 exec, exec, s[8:9]
	s_waitcnt lgkmcnt(0)
	; wave barrier
	s_waitcnt lgkmcnt(0)
	s_and_saveexec_b64 s[8:9], s[0:1]
	s_cbranch_execz .LBB0_15
; %bb.14:
	ds_read_b128 v[64:67], v187
	ds_read_b128 v[68:71], v187 offset:288
	ds_read_b128 v[76:79], v187 offset:576
	;; [unrolled: 1-line block ×12, first 2 shown]
.LBB0_15:
	s_or_b64 exec, exec, s[8:9]
	s_waitcnt lgkmcnt(0)
	v_add_f64 v[121:122], v[70:71], -v[10:11]
	v_add_f64 v[119:120], v[70:71], v[10:11]
	s_mov_b32 s8, 0xb2365da1
	s_mov_b32 s16, 0x2ef20147
	;; [unrolled: 1-line block ×4, first 2 shown]
	v_add_f64 v[117:118], v[68:69], v[8:9]
	v_add_f64 v[155:156], v[68:69], -v[8:9]
	v_mul_f64 v[167:168], v[121:122], s[16:17]
	v_mul_f64 v[112:113], v[119:120], s[8:9]
	v_add_f64 v[127:128], v[78:79], -v[6:7]
	v_add_f64 v[125:126], v[78:79], v[6:7]
	s_mov_b32 s40, 0x24c2f84
	s_mov_b32 s10, 0xd0032e0c
	;; [unrolled: 1-line block ×4, first 2 shown]
	v_add_f64 v[123:124], v[76:77], v[4:5]
	v_add_f64 v[161:162], v[76:77], -v[4:5]
	v_fma_f64 v[104:105], v[117:118], s[8:9], -v[167:168]
	v_fma_f64 v[106:107], v[155:156], s[16:17], v[112:113]
	v_mul_f64 v[169:170], v[127:128], s[40:41]
	v_mul_f64 v[177:178], v[125:126], s[10:11]
	v_add_f64 v[133:134], v[74:75], -v[2:3]
	v_add_f64 v[131:132], v[74:75], v[2:3]
	s_mov_b32 s20, 0xe00740e9
	s_mov_b32 s21, 0x3fec55a7
	;; [unrolled: 1-line block ×4, first 2 shown]
	v_fma_f64 v[108:109], v[123:124], s[10:11], -v[169:170]
	v_add_f64 v[104:105], v[64:65], v[104:105]
	v_add_f64 v[106:107], v[66:67], v[106:107]
	v_fma_f64 v[110:111], v[161:162], s[40:41], v[177:178]
	v_add_f64 v[129:130], v[72:73], v[0:1]
	v_add_f64 v[149:150], v[72:73], -v[0:1]
	v_mul_f64 v[165:166], v[133:134], s[26:27]
	v_mul_f64 v[179:180], v[131:132], s[20:21]
	v_add_f64 v[143:144], v[86:87], -v[98:99]
	v_add_f64 v[137:138], v[86:87], v[98:99]
	s_mov_b32 s24, 0xebaa3ed8
	s_mov_b32 s28, 0x66966769
	s_mov_b32 s25, 0x3fbedb7d
	s_mov_b32 s29, 0xbfefc445
	v_add_f64 v[104:105], v[108:109], v[104:105]
	v_add_f64 v[106:107], v[110:111], v[106:107]
	v_fma_f64 v[108:109], v[129:130], s[20:21], -v[165:166]
	v_fma_f64 v[110:111], v[149:150], s[26:27], v[179:180]
	v_add_f64 v[135:136], v[84:85], v[96:97]
	v_add_f64 v[153:154], v[84:85], -v[96:97]
	v_mul_f64 v[175:176], v[143:144], s[28:29]
	v_mul_f64 v[181:182], v[137:138], s[24:25]
	v_add_f64 v[151:152], v[82:83], -v[102:103]
	v_add_f64 v[141:142], v[82:83], v[102:103]
	s_mov_b32 s22, 0x93053d00
	s_mov_b32 s44, 0x4bc48dbf
	s_mov_b32 s23, 0xbfef11f4
	s_mov_b32 s45, 0x3fcea1e5
	v_add_f64 v[104:105], v[108:109], v[104:105]
	v_add_f64 v[106:107], v[110:111], v[106:107]
	v_fma_f64 v[108:109], v[135:136], s[24:25], -v[175:176]
	v_fma_f64 v[110:111], v[153:154], s[28:29], v[181:182]
	v_add_f64 v[139:140], v[80:81], v[100:101]
	v_add_f64 v[157:158], v[80:81], -v[100:101]
	v_mul_f64 v[173:174], v[151:152], s[44:45]
	v_mul_f64 v[185:186], v[141:142], s[22:23]
	v_add_f64 v[159:160], v[94:95], -v[90:91]
	v_add_f64 v[147:148], v[94:95], v[90:91]
	s_mov_b32 s30, 0x1ea71119
	s_mov_b32 s31, 0x3fe22d96
	s_mov_b32 s35, 0x3fea55e2
	s_mov_b32 s34, 0x42a4c3d2
	v_add_f64 v[104:105], v[108:109], v[104:105]
	v_add_f64 v[106:107], v[110:111], v[106:107]
	v_fma_f64 v[108:109], v[139:140], s[22:23], -v[173:174]
	v_fma_f64 v[110:111], v[157:158], s[44:45], v[185:186]
	v_add_f64 v[145:146], v[92:93], v[88:89]
	v_add_f64 v[163:164], v[92:93], -v[88:89]
	v_mul_f64 v[171:172], v[159:160], s[34:35]
	v_mul_f64 v[183:184], v[147:148], s[30:31]
	s_waitcnt lgkmcnt(0)
	; wave barrier
	v_add_f64 v[104:105], v[108:109], v[104:105]
	v_add_f64 v[106:107], v[110:111], v[106:107]
	v_fma_f64 v[108:109], v[145:146], s[30:31], -v[171:172]
	v_fma_f64 v[110:111], v[163:164], s[34:35], v[183:184]
	v_add_f64 v[104:105], v[108:109], v[104:105]
	v_add_f64 v[106:107], v[110:111], v[106:107]
	s_and_saveexec_b64 s[18:19], s[0:1]
	s_cbranch_execz .LBB0_17
; %bb.16:
	s_mov_b32 s37, 0xbfcea1e5
	s_mov_b32 s36, s44
	v_mul_f64 v[108:109], v[155:156], s[36:37]
	v_mul_f64 v[110:111], v[161:162], s[26:27]
	s_mov_b32 s39, 0xbfe5384d
	s_mov_b32 s38, s40
	v_mul_f64 v[207:208], v[149:150], s[38:39]
	v_mul_f64 v[224:225], v[153:154], s[34:35]
	;; [unrolled: 1-line block ×3, first 2 shown]
	s_mov_b32 s43, 0x3fefc445
	v_fma_f64 v[114:115], v[119:120], s[22:23], v[108:109]
	v_fma_f64 v[209:210], v[125:126], s[20:21], v[110:111]
	s_mov_b32 s42, s28
	v_mul_f64 v[232:233], v[127:128], s[26:27]
	v_fma_f64 v[228:229], v[131:132], s[10:11], v[207:208]
	v_fma_f64 v[234:235], v[137:138], s[30:31], v[224:225]
	v_fma_f64 v[236:237], v[117:118], s[22:23], -v[226:227]
	v_mul_f64 v[238:239], v[163:164], s[42:43]
	v_add_f64 v[114:115], v[66:67], v[114:115]
	v_fma_f64 v[108:109], v[119:120], s[22:23], -v[108:109]
	v_mul_f64 v[242:243], v[133:134], s[38:39]
	v_fma_f64 v[246:247], v[123:124], s[20:21], -v[232:233]
	v_mul_f64 v[248:249], v[155:156], s[38:39]
	v_fma_f64 v[226:227], v[117:118], s[22:23], v[226:227]
	v_add_f64 v[236:237], v[64:65], v[236:237]
	v_fma_f64 v[252:253], v[147:148], s[24:25], v[238:239]
	v_add_f64 v[114:115], v[209:210], v[114:115]
	v_mul_f64 v[209:210], v[157:158], s[16:17]
	v_add_f64 v[108:109], v[66:67], v[108:109]
	v_fma_f64 v[254:255], v[129:130], s[10:11], -v[242:243]
	v_mul_f64 v[222:223], v[163:164], s[34:35]
	v_mul_f64 v[230:231], v[151:152], s[16:17]
	v_add_f64 v[236:237], v[246:247], v[236:237]
	v_add_f64 v[226:227], v[64:65], v[226:227]
	v_add_f64 v[114:115], v[228:229], v[114:115]
	v_fma_f64 v[244:245], v[141:142], s[8:9], v[209:210]
	v_mul_f64 v[228:229], v[143:144], s[34:35]
	s_mov_b32 s35, 0xbfea55e2
	v_fma_f64 v[224:225], v[137:138], s[30:31], -v[224:225]
	v_mul_f64 v[240:241], v[159:160], s[42:43]
	v_add_f64 v[236:237], v[254:255], v[236:237]
	v_fma_f64 v[250:251], v[139:140], s[8:9], -v[230:231]
	v_add_f64 v[114:115], v[234:235], v[114:115]
	v_mul_f64 v[234:235], v[161:162], s[42:43]
	v_fma_f64 v[246:247], v[135:136], s[30:31], -v[228:229]
	v_fma_f64 v[209:210], v[141:142], s[8:9], -v[209:210]
	v_mul_f64 v[193:194], v[155:156], s[16:17]
	v_mov_b32_e32 v217, v215
	buffer_store_dword v216, off, s[52:55], 0 ; 4-byte Folded Spill
	v_fma_f64 v[215:216], v[145:146], s[24:25], -v[240:241]
	v_add_f64 v[114:115], v[244:245], v[114:115]
	v_fma_f64 v[244:245], v[125:126], s[20:21], -v[110:111]
	v_fma_f64 v[110:111], v[119:120], s[10:11], v[248:249]
	v_mul_f64 v[197:198], v[161:162], s[40:41]
	v_fma_f64 v[238:239], v[147:148], s[24:25], -v[238:239]
	v_add_f64 v[112:113], v[112:113], -v[193:194]
	v_mul_f64 v[201:202], v[149:150], s[26:27]
	v_mul_f64 v[205:206], v[153:154], s[28:29]
	v_add_f64 v[252:253], v[252:253], v[114:115]
	v_fma_f64 v[114:115], v[131:132], s[10:11], -v[207:208]
	v_add_f64 v[108:109], v[244:245], v[108:109]
	v_fma_f64 v[207:208], v[123:124], s[20:21], v[232:233]
	v_mul_f64 v[232:233], v[149:150], s[34:35]
	v_fma_f64 v[244:245], v[125:126], s[24:25], v[234:235]
	v_add_f64 v[110:111], v[66:67], v[110:111]
	v_fma_f64 v[234:235], v[125:126], s[24:25], -v[234:235]
	v_add_f64 v[177:178], v[177:178], -v[197:198]
	v_add_f64 v[112:113], v[66:67], v[112:113]
	v_add_f64 v[108:109], v[114:115], v[108:109]
	v_fma_f64 v[114:115], v[129:130], s[10:11], v[242:243]
	v_add_f64 v[207:208], v[207:208], v[226:227]
	v_add_f64 v[226:227], v[246:247], v[236:237]
	v_mul_f64 v[236:237], v[153:154], s[44:45]
	v_fma_f64 v[242:243], v[131:132], s[30:31], v[232:233]
	v_add_f64 v[110:111], v[244:245], v[110:111]
	v_mul_f64 v[246:247], v[143:144], s[44:45]
	v_add_f64 v[108:109], v[224:225], v[108:109]
	v_fma_f64 v[224:225], v[135:136], s[30:31], v[228:229]
	v_add_f64 v[114:115], v[114:115], v[207:208]
	v_add_f64 v[207:208], v[250:251], v[226:227]
	v_fma_f64 v[228:229], v[137:138], s[22:23], v[236:237]
	v_mul_f64 v[226:227], v[157:158], s[26:27]
	v_add_f64 v[110:111], v[242:243], v[110:111]
	v_mul_f64 v[242:243], v[163:164], s[16:17]
	v_add_f64 v[108:109], v[209:210], v[108:109]
	v_fma_f64 v[209:210], v[139:140], s[8:9], v[230:231]
	v_mul_f64 v[230:231], v[121:122], s[38:39]
	v_add_f64 v[250:251], v[215:216], v[207:208]
	v_mul_f64 v[207:208], v[127:128], s[42:43]
	v_add_f64 v[224:225], v[224:225], v[114:115]
	v_add_f64 v[110:111], v[228:229], v[110:111]
	v_fma_f64 v[228:229], v[119:120], s[10:11], -v[248:249]
	v_add_f64 v[114:115], v[238:239], v[108:109]
	v_fma_f64 v[108:109], v[145:146], s[24:25], v[240:241]
	v_fma_f64 v[215:216], v[117:118], s[10:11], -v[230:231]
	v_fma_f64 v[230:231], v[117:118], s[10:11], v[230:231]
	v_mul_f64 v[238:239], v[133:134], s[34:35]
	v_fma_f64 v[240:241], v[123:124], s[24:25], -v[207:208]
	v_fma_f64 v[207:208], v[123:124], s[24:25], v[207:208]
	v_add_f64 v[228:229], v[66:67], v[228:229]
	v_fma_f64 v[244:245], v[141:142], s[20:21], v[226:227]
	v_fma_f64 v[232:233], v[131:132], s[30:31], -v[232:233]
	v_add_f64 v[215:216], v[64:65], v[215:216]
	v_add_f64 v[230:231], v[64:65], v[230:231]
	v_fma_f64 v[248:249], v[129:130], s[30:31], -v[238:239]
	v_add_f64 v[179:180], v[179:180], -v[201:202]
	v_add_f64 v[112:113], v[177:178], v[112:113]
	v_add_f64 v[193:194], v[234:235], v[228:229]
	v_fma_f64 v[228:229], v[129:130], s[30:31], v[238:239]
	v_mul_f64 v[191:192], v[117:118], s[8:9]
	v_add_f64 v[215:216], v[240:241], v[215:216]
	v_add_f64 v[207:208], v[207:208], v[230:231]
	v_mul_f64 v[218:219], v[157:158], s[44:45]
	v_add_f64 v[209:210], v[209:210], v[224:225]
	v_fma_f64 v[224:225], v[147:148], s[8:9], v[242:243]
	v_add_f64 v[110:111], v[244:245], v[110:111]
	v_mul_f64 v[240:241], v[151:152], s[26:27]
	v_fma_f64 v[230:231], v[135:136], s[22:23], -v[246:247]
	v_add_f64 v[215:216], v[248:249], v[215:216]
	v_fma_f64 v[234:235], v[137:138], s[22:23], -v[236:237]
	v_add_f64 v[193:194], v[232:233], v[193:194]
	v_fma_f64 v[197:198], v[135:136], s[22:23], v[246:247]
	v_add_f64 v[207:208], v[228:229], v[207:208]
	v_add_f64 v[181:182], v[181:182], -v[205:206]
	v_add_f64 v[205:206], v[179:180], v[112:113]
	v_mul_f64 v[195:196], v[123:124], s[10:11]
	v_mul_f64 v[203:204], v[135:136], s[24:25]
	;; [unrolled: 1-line block ×3, first 2 shown]
	v_fma_f64 v[228:229], v[139:140], s[20:21], -v[240:241]
	v_add_f64 v[215:216], v[230:231], v[215:216]
	v_add_f64 v[177:178], v[234:235], v[193:194]
	v_fma_f64 v[193:194], v[139:140], s[20:21], v[240:241]
	v_add_f64 v[197:198], v[197:198], v[207:208]
	v_add_f64 v[112:113], v[108:109], v[209:210]
	;; [unrolled: 1-line block ×4, first 2 shown]
	v_add_f64 v[110:111], v[185:186], -v[218:219]
	v_add_f64 v[167:168], v[181:182], v[205:206]
	v_mul_f64 v[199:200], v[129:130], s[20:21]
	v_add_f64 v[207:208], v[228:229], v[215:216]
	v_fma_f64 v[228:229], v[145:146], s[8:9], v[244:245]
	v_add_f64 v[197:198], v[193:194], v[197:198]
	v_add_f64 v[169:170], v[195:196], v[169:170]
	v_mul_f64 v[181:182], v[155:156], s[28:29]
	v_add_f64 v[108:109], v[64:65], v[108:109]
	v_add_f64 v[110:111], v[110:111], v[167:168]
	v_add_f64 v[167:168], v[203:204], v[175:176]
	v_mul_f64 v[175:176], v[121:122], s[28:29]
	v_mul_f64 v[211:212], v[139:140], s[22:23]
	v_fma_f64 v[226:227], v[141:142], s[20:21], -v[226:227]
	v_fma_f64 v[201:202], v[145:146], s[8:9], -v[244:245]
	v_add_f64 v[191:192], v[228:229], v[197:198]
	v_add_f64 v[165:166], v[199:200], v[165:166]
	v_mul_f64 v[185:186], v[161:162], s[36:37]
	v_fma_f64 v[195:196], v[119:120], s[24:25], v[181:182]
	v_add_f64 v[108:109], v[169:170], v[108:109]
	v_mul_f64 v[197:198], v[127:128], s[36:37]
	v_fma_f64 v[169:170], v[117:118], s[24:25], -v[175:176]
	s_mov_b32 s45, 0x3fedeba7
	s_mov_b32 s44, s16
	v_add_f64 v[226:227], v[226:227], v[177:178]
	v_add_f64 v[177:178], v[201:202], v[207:208]
	v_mul_f64 v[199:200], v[149:150], s[44:45]
	v_fma_f64 v[201:202], v[125:126], s[22:23], v[185:186]
	v_add_f64 v[195:196], v[66:67], v[195:196]
	v_add_f64 v[108:109], v[165:166], v[108:109]
	;; [unrolled: 1-line block ×3, first 2 shown]
	v_mul_f64 v[173:174], v[133:134], s[44:45]
	v_fma_f64 v[203:204], v[123:124], s[22:23], -v[197:198]
	v_add_f64 v[169:170], v[64:65], v[169:170]
	v_mul_f64 v[220:221], v[145:146], s[30:31]
	v_mul_f64 v[205:206], v[153:154], s[26:27]
	v_fma_f64 v[207:208], v[131:132], s[8:9], v[199:200]
	v_add_f64 v[195:196], v[201:202], v[195:196]
	v_add_f64 v[108:109], v[167:168], v[108:109]
	v_mul_f64 v[201:202], v[143:144], s[26:27]
	v_fma_f64 v[167:168], v[129:130], s[8:9], -v[173:174]
	v_fma_f64 v[181:182], v[119:120], s[24:25], -v[181:182]
	v_add_f64 v[169:170], v[203:204], v[169:170]
	v_fma_f64 v[215:216], v[147:148], s[8:9], -v[242:243]
	v_mul_f64 v[203:204], v[157:158], s[34:35]
	v_fma_f64 v[209:210], v[137:138], s[20:21], v[205:206]
	v_add_f64 v[195:196], v[207:208], v[195:196]
	v_mul_f64 v[207:208], v[151:152], s[34:35]
	v_fma_f64 v[211:212], v[135:136], s[20:21], -v[201:202]
	v_fma_f64 v[185:186], v[125:126], s[22:23], -v[185:186]
	v_add_f64 v[181:182], v[66:67], v[181:182]
	v_add_f64 v[167:168], v[167:168], v[169:170]
	;; [unrolled: 1-line block ×5, first 2 shown]
	v_add_f64 v[183:184], v[183:184], -v[222:223]
	v_mul_f64 v[215:216], v[163:164], s[38:39]
	v_fma_f64 v[169:170], v[141:142], s[30:31], v[203:204]
	v_add_f64 v[195:196], v[209:210], v[195:196]
	v_mul_f64 v[209:210], v[159:160], s[38:39]
	v_fma_f64 v[218:219], v[139:140], s[30:31], -v[207:208]
	v_fma_f64 v[199:200], v[131:132], s[8:9], -v[199:200]
	v_add_f64 v[181:182], v[185:186], v[181:182]
	v_add_f64 v[167:168], v[211:212], v[167:168]
	;; [unrolled: 1-line block ×3, first 2 shown]
	v_fma_f64 v[108:109], v[117:118], s[24:25], v[175:176]
	v_fma_f64 v[185:186], v[147:148], s[10:11], v[215:216]
	v_add_f64 v[169:170], v[169:170], v[195:196]
	v_fma_f64 v[195:196], v[145:146], s[10:11], -v[209:210]
	v_fma_f64 v[205:206], v[137:138], s[20:21], -v[205:206]
	v_add_f64 v[181:182], v[199:200], v[181:182]
	v_add_f64 v[199:200], v[218:219], v[167:168]
	;; [unrolled: 1-line block ×3, first 2 shown]
	v_mul_f64 v[175:176], v[155:156], s[34:35]
	v_fma_f64 v[183:184], v[123:124], s[22:23], v[197:198]
	v_add_f64 v[108:109], v[64:65], v[108:109]
	v_add_f64 v[171:172], v[185:186], v[169:170]
	v_fma_f64 v[110:111], v[141:142], s[30:31], -v[203:204]
	v_add_f64 v[181:182], v[205:206], v[181:182]
	v_add_f64 v[169:170], v[195:196], v[199:200]
	v_mul_f64 v[185:186], v[121:122], s[34:35]
	v_mul_f64 v[197:198], v[161:162], s[16:17]
	v_fma_f64 v[199:200], v[119:120], s[30:31], v[175:176]
	v_fma_f64 v[173:174], v[129:130], s[8:9], v[173:174]
	v_add_f64 v[108:109], v[183:184], v[108:109]
	v_add_f64 v[70:71], v[66:67], v[70:71]
	v_add_f64 v[68:69], v[64:65], v[68:69]
	v_add_f64 v[110:111], v[110:111], v[181:182]
	v_mul_f64 v[181:182], v[127:128], s[16:17]
	v_fma_f64 v[203:204], v[117:118], s[30:31], -v[185:186]
	v_mul_f64 v[183:184], v[149:150], s[36:37]
	v_fma_f64 v[205:206], v[125:126], s[8:9], v[197:198]
	v_add_f64 v[199:200], v[66:67], v[199:200]
	v_fma_f64 v[201:202], v[135:136], s[20:21], v[201:202]
	v_add_f64 v[108:109], v[173:174], v[108:109]
	v_add_f64 v[70:71], v[70:71], v[78:79]
	;; [unrolled: 1-line block ×3, first 2 shown]
	v_fma_f64 v[195:196], v[147:148], s[10:11], -v[215:216]
	v_mul_f64 v[211:212], v[133:134], s[36:37]
	v_fma_f64 v[215:216], v[123:124], s[8:9], -v[181:182]
	v_add_f64 v[203:204], v[64:65], v[203:204]
	v_mul_f64 v[218:219], v[153:154], s[40:41]
	v_fma_f64 v[173:174], v[131:132], s[22:23], v[183:184]
	v_add_f64 v[199:200], v[205:206], v[199:200]
	v_fma_f64 v[205:206], v[139:140], s[30:31], v[207:208]
	v_add_f64 v[108:109], v[201:202], v[108:109]
	v_add_f64 v[70:71], v[70:71], v[74:75]
	;; [unrolled: 1-line block ×3, first 2 shown]
	v_fma_f64 v[220:221], v[129:130], s[22:23], -v[211:212]
	v_add_f64 v[203:204], v[215:216], v[203:204]
	v_mul_f64 v[201:202], v[157:158], s[42:43]
	v_fma_f64 v[215:216], v[137:138], s[10:11], v[218:219]
	v_add_f64 v[173:174], v[173:174], v[199:200]
	v_fma_f64 v[199:200], v[145:146], s[10:11], v[209:210]
	v_add_f64 v[108:109], v[205:206], v[108:109]
	v_fma_f64 v[228:229], v[119:120], s[30:31], -v[175:176]
	v_add_f64 v[70:71], v[70:71], v[86:87]
	v_add_f64 v[84:85], v[68:69], v[84:85]
	v_mul_f64 v[205:206], v[163:164], s[26:27]
	v_mul_f64 v[224:225], v[159:160], s[26:27]
	s_mov_b32 s27, 0xbfddbe06
	v_add_f64 v[203:204], v[220:221], v[203:204]
	v_fma_f64 v[220:221], v[141:142], s[24:25], v[201:202]
	v_add_f64 v[215:216], v[215:216], v[173:174]
	v_add_f64 v[173:174], v[199:200], v[108:109]
	v_fma_f64 v[197:198], v[125:126], s[8:9], -v[197:198]
	v_add_f64 v[199:200], v[66:67], v[228:229]
	v_fma_f64 v[185:186], v[117:118], s[30:31], v[185:186]
	v_mul_f64 v[155:156], v[155:156], s[26:27]
	v_add_f64 v[70:71], v[70:71], v[82:83]
	v_add_f64 v[80:81], v[84:85], v[80:81]
	v_mul_f64 v[82:83], v[121:122], s[26:27]
	v_add_f64 v[175:176], v[195:196], v[110:111]
	v_add_f64 v[110:111], v[220:221], v[215:216]
	v_fma_f64 v[183:184], v[131:132], s[22:23], -v[183:184]
	v_add_f64 v[197:198], v[197:198], v[199:200]
	v_fma_f64 v[181:182], v[123:124], s[8:9], v[181:182]
	v_add_f64 v[185:186], v[64:65], v[185:186]
	v_mul_f64 v[161:162], v[161:162], s[34:35]
	v_fma_f64 v[215:216], v[119:120], s[20:21], v[155:156]
	v_fma_f64 v[119:120], v[119:120], s[20:21], -v[155:156]
	v_mul_f64 v[127:128], v[127:128], s[34:35]
	v_add_f64 v[70:71], v[70:71], v[94:95]
	v_add_f64 v[80:81], v[80:81], v[92:93]
	v_fma_f64 v[92:93], v[117:118], s[20:21], v[82:83]
	v_fma_f64 v[82:83], v[117:118], s[20:21], -v[82:83]
	v_mul_f64 v[207:208], v[143:144], s[40:41]
	v_fma_f64 v[199:200], v[137:138], s[10:11], -v[218:219]
	v_add_f64 v[183:184], v[183:184], v[197:198]
	v_fma_f64 v[197:198], v[129:130], s[22:23], v[211:212]
	v_add_f64 v[181:182], v[181:182], v[185:186]
	v_mul_f64 v[149:150], v[149:150], s[28:29]
	v_add_f64 v[211:212], v[66:67], v[215:216]
	v_mul_f64 v[94:95], v[133:134], s[28:29]
	v_fma_f64 v[117:118], v[125:126], s[30:31], -v[161:162]
	v_add_f64 v[66:67], v[66:67], v[119:120]
	v_fma_f64 v[119:120], v[123:124], s[30:31], v[127:128]
	v_add_f64 v[70:71], v[70:71], v[90:91]
	v_add_f64 v[80:81], v[80:81], v[88:89]
	;; [unrolled: 1-line block ×3, first 2 shown]
	v_fma_f64 v[90:91], v[123:124], s[30:31], -v[127:128]
	v_add_f64 v[64:65], v[64:65], v[82:83]
	v_fma_f64 v[201:202], v[141:142], s[24:25], -v[201:202]
	v_add_f64 v[76:77], v[199:200], v[183:184]
	v_fma_f64 v[78:79], v[135:136], s[10:11], v[207:208]
	v_add_f64 v[181:182], v[197:198], v[181:182]
	v_mul_f64 v[153:154], v[153:154], s[16:17]
	v_mul_f64 v[143:144], v[143:144], s[16:17]
	v_fma_f64 v[82:83], v[131:132], s[24:25], -v[149:150]
	v_add_f64 v[66:67], v[117:118], v[66:67]
	v_fma_f64 v[92:93], v[129:130], s[24:25], v[94:95]
	v_add_f64 v[70:71], v[70:71], v[102:103]
	v_add_f64 v[80:81], v[80:81], v[100:101]
	;; [unrolled: 1-line block ×3, first 2 shown]
	v_fma_f64 v[94:95], v[129:130], s[24:25], -v[94:95]
	v_add_f64 v[64:65], v[90:91], v[64:65]
	v_add_f64 v[72:73], v[201:202], v[76:77]
	;; [unrolled: 1-line block ×3, first 2 shown]
	v_mul_f64 v[78:79], v[157:158], s[38:39]
	v_mul_f64 v[121:122], v[151:152], s[38:39]
	v_fma_f64 v[90:91], v[137:138], s[8:9], -v[153:154]
	v_add_f64 v[66:67], v[82:83], v[66:67]
	v_fma_f64 v[82:83], v[135:136], s[8:9], v[143:144]
	v_add_f64 v[70:71], v[70:71], v[98:99]
	v_add_f64 v[80:81], v[80:81], v[96:97]
	;; [unrolled: 1-line block ×3, first 2 shown]
	v_fma_f64 v[92:93], v[135:136], s[8:9], -v[143:144]
	v_add_f64 v[64:65], v[94:95], v[64:65]
	v_fma_f64 v[86:87], v[141:142], s[10:11], v[78:79]
	v_mul_f64 v[84:85], v[159:160], s[36:37]
	v_fma_f64 v[78:79], v[141:142], s[10:11], -v[78:79]
	v_add_f64 v[66:67], v[90:91], v[66:67]
	v_fma_f64 v[90:91], v[139:140], s[10:11], v[121:122]
	v_add_f64 v[2:3], v[70:71], v[2:3]
	v_add_f64 v[0:1], v[80:81], v[0:1]
	;; [unrolled: 1-line block ×3, first 2 shown]
	v_fma_f64 v[80:81], v[139:140], s[10:11], -v[121:122]
	v_add_f64 v[64:65], v[92:93], v[64:65]
	v_fma_f64 v[185:186], v[125:126], s[30:31], v[161:162]
	v_add_f64 v[66:67], v[78:79], v[66:67]
	v_fma_f64 v[78:79], v[145:146], s[22:23], v[84:85]
	v_fma_f64 v[84:85], v[145:146], s[22:23], -v[84:85]
	v_add_f64 v[0:1], v[0:1], v[4:5]
	v_add_f64 v[70:71], v[90:91], v[70:71]
	v_mul_f64 v[209:210], v[151:152], s[42:43]
	v_add_f64 v[64:65], v[80:81], v[64:65]
	v_fma_f64 v[183:184], v[131:132], s[24:25], v[149:150]
	v_add_f64 v[185:186], v[185:186], v[211:212]
	v_fma_f64 v[222:223], v[135:136], s[10:11], -v[207:208]
	v_fma_f64 v[157:158], v[137:138], s[8:9], v[153:154]
	v_add_f64 v[4:5], v[0:1], v[8:9]
	v_add_f64 v[0:1], v[78:79], v[70:71]
	v_fma_f64 v[74:75], v[139:140], s[24:25], v[209:210]
	v_add_f64 v[70:71], v[84:85], v[64:65]
	buffer_load_dword v65, off, s[52:55], 0 ; 4-byte Folded Reload
	v_add_f64 v[181:182], v[183:184], v[185:186]
	v_fma_f64 v[108:109], v[147:148], s[20:21], v[205:206]
	v_fma_f64 v[205:206], v[147:148], s[20:21], -v[205:206]
	v_fma_f64 v[226:227], v[139:140], s[24:25], -v[209:210]
	v_add_f64 v[203:204], v[222:223], v[203:204]
	v_add_f64 v[74:75], v[74:75], v[76:77]
	v_mul_f64 v[76:77], v[163:164], s[36:37]
	v_add_f64 v[6:7], v[2:3], v[6:7]
	v_add_f64 v[157:158], v[157:158], v[181:182]
	v_fma_f64 v[195:196], v[145:146], s[20:21], -v[224:225]
	v_add_f64 v[68:69], v[205:206], v[72:73]
	v_fma_f64 v[72:73], v[145:146], s[20:21], v[224:225]
	v_add_f64 v[203:204], v[226:227], v[203:204]
	v_mul_lo_u16_e32 v64, 13, v214
	v_fma_f64 v[82:83], v[147:148], s[22:23], -v[76:77]
	v_fma_f64 v[76:77], v[147:148], s[22:23], v[76:77]
	v_add_f64 v[86:87], v[86:87], v[157:158]
	v_add_f64 v[6:7], v[6:7], v[10:11]
	v_mov_b32_e32 v215, v217
	v_add_f64 v[10:11], v[108:109], v[110:111]
	v_add_f64 v[8:9], v[195:196], v[203:204]
	;; [unrolled: 1-line block ×5, first 2 shown]
	s_waitcnt vmcnt(0)
	v_lshl_add_u32 v64, v64, 4, v65
	ds_write_b128 v64, v[4:7]
	ds_write_b128 v64, v[0:3] offset:16
	ds_write_b128 v64, v[66:69] offset:32
	;; [unrolled: 1-line block ×12, first 2 shown]
.LBB0_17:
	s_or_b64 exec, exec, s[18:19]
	s_waitcnt lgkmcnt(0)
	; wave barrier
	s_waitcnt lgkmcnt(0)
	ds_read_b128 v[4:7], v188
	ds_read_b128 v[0:3], v188 offset:416
	ds_read_b128 v[8:11], v188 offset:832
	;; [unrolled: 1-line block ×5, first 2 shown]
	s_waitcnt lgkmcnt(4)
	v_mul_f64 v[88:89], v[26:27], v[2:3]
	v_mul_f64 v[26:27], v[26:27], v[0:1]
	s_waitcnt lgkmcnt(3)
	v_mul_f64 v[90:91], v[22:23], v[10:11]
	v_mul_f64 v[22:23], v[22:23], v[8:9]
	;; [unrolled: 3-line block ×3, first 2 shown]
	ds_read_b128 v[76:79], v188 offset:2496
	ds_read_b128 v[80:83], v188 offset:2912
	;; [unrolled: 1-line block ×3, first 2 shown]
	s_mov_b32 s11, 0x3fe491b7
	v_fma_f64 v[0:1], v[24:25], v[0:1], v[88:89]
	v_fma_f64 v[2:3], v[24:25], v[2:3], -v[26:27]
	s_waitcnt lgkmcnt(4)
	v_mul_f64 v[24:25], v[14:15], v[70:71]
	v_mul_f64 v[14:15], v[14:15], v[68:69]
	v_fma_f64 v[8:9], v[20:21], v[8:9], v[90:91]
	v_fma_f64 v[10:11], v[20:21], v[10:11], -v[22:23]
	v_fma_f64 v[20:21], v[16:17], v[64:65], v[92:93]
	v_fma_f64 v[16:17], v[16:17], v[66:67], -v[18:19]
	s_waitcnt lgkmcnt(0)
	v_mul_f64 v[18:19], v[42:43], v[86:87]
	v_mul_f64 v[22:23], v[42:43], v[84:85]
	v_fma_f64 v[24:25], v[12:13], v[68:69], v[24:25]
	v_fma_f64 v[26:27], v[12:13], v[70:71], -v[14:15]
	v_mul_f64 v[12:13], v[38:39], v[82:83]
	v_mul_f64 v[14:15], v[38:39], v[80:81]
	;; [unrolled: 1-line block ×4, first 2 shown]
	v_fma_f64 v[18:19], v[40:41], v[84:85], v[18:19]
	v_fma_f64 v[22:23], v[40:41], v[86:87], -v[22:23]
	v_mul_f64 v[40:41], v[30:31], v[78:79]
	v_mul_f64 v[30:31], v[30:31], v[76:77]
	v_fma_f64 v[12:13], v[36:37], v[80:81], v[12:13]
	v_fma_f64 v[14:15], v[36:37], v[82:83], -v[14:15]
	v_fma_f64 v[36:37], v[32:33], v[72:73], v[38:39]
	v_fma_f64 v[32:33], v[32:33], v[74:75], -v[34:35]
	v_add_f64 v[34:35], v[0:1], -v[18:19]
	s_mov_b32 s10, 0x523c161c
	v_add_f64 v[38:39], v[2:3], -v[22:23]
	v_fma_f64 v[40:41], v[28:29], v[76:77], v[40:41]
	v_fma_f64 v[28:29], v[28:29], v[78:79], -v[30:31]
	v_add_f64 v[30:31], v[8:9], -v[12:13]
	s_mov_b32 s18, 0x8c811c17
	s_mov_b32 s19, 0x3fef838b
	v_mul_f64 v[64:65], v[34:35], s[10:11]
	v_add_f64 v[42:43], v[10:11], -v[14:15]
	v_mul_f64 v[66:67], v[38:39], s[10:11]
	v_add_f64 v[18:19], v[0:1], v[18:19]
	v_add_f64 v[22:23], v[2:3], v[22:23]
	v_add_f64 v[68:69], v[20:21], -v[40:41]
	s_mov_b32 s8, 0xe8584cab
	s_mov_b32 s20, 0xa2cf5039
	v_fma_f64 v[0:1], v[30:31], s[18:19], v[64:65]
	s_mov_b32 s9, 0x3febb67a
	s_mov_b32 s21, 0x3fe8836f
	v_add_f64 v[70:71], v[16:17], -v[28:29]
	v_fma_f64 v[2:3], v[42:43], s[18:19], v[66:67]
	v_add_f64 v[64:65], v[8:9], v[12:13]
	v_add_f64 v[66:67], v[10:11], v[14:15]
	;; [unrolled: 1-line block ×4, first 2 shown]
	v_fma_f64 v[0:1], v[68:69], s[8:9], v[0:1]
	v_add_f64 v[28:29], v[24:25], -v[36:37]
	v_add_f64 v[40:41], v[26:27], -v[32:33]
	v_fma_f64 v[8:9], v[18:19], s[20:21], v[4:5]
	v_fma_f64 v[10:11], v[22:23], s[20:21], v[6:7]
	v_add_f64 v[72:73], v[24:25], v[36:37]
	v_add_f64 v[74:75], v[26:27], v[32:33]
	s_mov_b32 s16, 0x748a0bf8
	s_mov_b32 s22, 0x7e0b738b
	;; [unrolled: 1-line block ×5, first 2 shown]
	v_fma_f64 v[12:13], v[28:29], s[16:17], v[0:1]
	v_fma_f64 v[0:1], v[64:65], s[22:23], v[8:9]
	;; [unrolled: 1-line block ×3, first 2 shown]
	v_mul_f64 v[10:11], v[28:29], s[10:11]
	v_mul_f64 v[14:15], v[40:41], s[10:11]
	v_fma_f64 v[76:77], v[72:73], s[20:21], v[4:5]
	v_fma_f64 v[78:79], v[74:75], s[20:21], v[6:7]
	;; [unrolled: 1-line block ×3, first 2 shown]
	s_mov_b32 s24, 0x42522d1b
	v_fma_f64 v[0:1], v[20:21], -0.5, v[0:1]
	v_fma_f64 v[8:9], v[16:17], -0.5, v[8:9]
	v_fma_f64 v[10:11], v[34:35], s[18:19], v[10:11]
	v_fma_f64 v[14:15], v[38:39], s[18:19], v[14:15]
	;; [unrolled: 1-line block ×4, first 2 shown]
	s_mov_b32 s25, 0xbfee11f6
	s_mov_b32 s27, 0xbfebb67a
	;; [unrolled: 1-line block ×3, first 2 shown]
	v_fma_f64 v[2:3], v[40:41], s[16:17], v[2:3]
	v_fma_f64 v[0:1], v[72:73], s[24:25], v[0:1]
	;; [unrolled: 1-line block ×5, first 2 shown]
	v_fma_f64 v[76:77], v[20:21], -0.5, v[76:77]
	v_fma_f64 v[78:79], v[16:17], -0.5, v[78:79]
	v_add_f64 v[84:85], v[40:41], v[38:39]
	v_mul_f64 v[40:41], v[40:41], s[18:19]
	v_add_f64 v[8:9], v[0:1], -v[2:3]
	v_add_f64 v[10:11], v[12:13], v[80:81]
	v_fma_f64 v[80:81], v[30:31], s[16:17], v[82:83]
	v_fma_f64 v[82:83], v[42:43], s[16:17], v[14:15]
	;; [unrolled: 1-line block ×4, first 2 shown]
	v_add_f64 v[78:79], v[28:29], v[34:35]
	v_mul_f64 v[28:29], v[28:29], s[18:19]
	v_fma_f64 v[0:1], v[2:3], 2.0, v[8:9]
	v_fma_f64 v[2:3], v[12:13], -2.0, v[10:11]
	v_fma_f64 v[86:87], v[66:67], s[20:21], v[6:7]
	v_add_f64 v[66:67], v[66:67], v[22:23]
	v_add_f64 v[12:13], v[14:15], -v[82:83]
	v_add_f64 v[14:15], v[80:81], v[76:77]
	v_add_f64 v[76:77], v[78:79], -v[30:31]
	v_add_f64 v[78:79], v[84:85], -v[42:43]
	v_fma_f64 v[84:85], v[64:65], s[20:21], v[4:5]
	v_add_f64 v[64:65], v[64:65], v[18:19]
	v_fma_f64 v[28:29], v[30:31], s[10:11], -v[28:29]
	v_fma_f64 v[30:31], v[42:43], s[10:11], -v[40:41]
	v_fma_f64 v[42:43], v[74:75], s[22:23], v[86:87]
	v_add_f64 v[88:89], v[4:5], v[20:21]
	v_add_f64 v[90:91], v[6:7], v[16:17]
	v_fma_f64 v[40:41], v[72:73], s[22:23], v[84:85]
	v_add_f64 v[72:73], v[72:73], v[64:65]
	v_add_f64 v[64:65], v[20:21], v[64:65]
	;; [unrolled: 1-line block ×3, first 2 shown]
	v_fma_f64 v[28:29], v[68:69], s[8:9], v[28:29]
	v_fma_f64 v[30:31], v[70:71], s[8:9], v[30:31]
	v_fma_f64 v[16:17], v[16:17], -0.5, v[42:43]
	v_add_f64 v[66:67], v[74:75], v[66:67]
	v_fma_f64 v[20:21], v[20:21], -0.5, v[40:41]
	v_fma_f64 v[40:41], v[72:73], -0.5, v[88:89]
	v_add_f64 v[24:25], v[24:25], v[64:65]
	v_add_f64 v[26:27], v[26:27], v[84:85]
	v_fma_f64 v[34:35], v[34:35], s[16:17], v[28:29]
	v_fma_f64 v[38:39], v[38:39], s[16:17], v[30:31]
	;; [unrolled: 1-line block ×3, first 2 shown]
	v_fma_f64 v[42:43], v[66:67], -0.5, v[90:91]
	v_fma_f64 v[20:21], v[18:19], s[24:25], v[20:21]
	v_fma_f64 v[16:17], v[78:79], s[26:27], v[40:41]
	v_add_f64 v[28:29], v[36:37], v[24:25]
	v_add_f64 v[26:27], v[32:33], v[26:27]
	v_mul_f64 v[32:33], v[78:79], s[8:9]
	v_mul_f64 v[30:31], v[76:77], s[8:9]
	v_add_f64 v[22:23], v[34:35], v[22:23]
	v_fma_f64 v[18:19], v[76:77], s[8:9], v[42:43]
	v_add_f64 v[20:21], v[20:21], -v[38:39]
	v_fma_f64 v[24:25], v[82:83], 2.0, v[12:13]
	v_add_f64 v[4:5], v[4:5], v[28:29]
	v_add_f64 v[6:7], v[6:7], v[26:27]
	v_fma_f64 v[28:29], v[32:33], 2.0, v[16:17]
	v_fma_f64 v[26:27], v[80:81], -2.0, v[14:15]
	v_fma_f64 v[34:35], v[34:35], -2.0, v[22:23]
	;; [unrolled: 1-line block ×3, first 2 shown]
	v_fma_f64 v[32:33], v[38:39], 2.0, v[20:21]
	; wave barrier
	ds_write_b128 v189, v[4:7]
	ds_write_b128 v189, v[8:11] offset:208
	ds_write_b128 v189, v[12:15] offset:416
	;; [unrolled: 1-line block ×8, first 2 shown]
	s_waitcnt lgkmcnt(0)
	; wave barrier
	s_waitcnt lgkmcnt(0)
	ds_read_b128 v[8:11], v188
	ds_read_b128 v[12:15], v188 offset:416
	ds_read_b128 v[24:27], v188 offset:1872
	;; [unrolled: 1-line block ×7, first 2 shown]
	v_add_u32_e32 v37, 0x340, v190
	v_add_u32_e32 v36, 0x4e0, v190
	s_and_saveexec_b64 s[8:9], s[2:3]
	s_cbranch_execz .LBB0_19
; %bb.18:
	ds_read_b128 v[0:3], v188 offset:1664
	ds_read_b128 v[104:107], v188 offset:3536
.LBB0_19:
	s_or_b64 exec, exec, s[8:9]
	s_waitcnt lgkmcnt(5)
	v_mul_f64 v[38:39], v[50:51], v[26:27]
	v_mul_f64 v[40:41], v[50:51], v[24:25]
	s_waitcnt lgkmcnt(4)
	v_mul_f64 v[42:43], v[54:55], v[22:23]
	v_mul_f64 v[50:51], v[54:55], v[20:21]
	;; [unrolled: 3-line block ×4, first 2 shown]
	v_fma_f64 v[24:25], v[48:49], v[24:25], v[38:39]
	v_fma_f64 v[26:27], v[48:49], v[26:27], -v[40:41]
	v_fma_f64 v[38:39], v[52:53], v[20:21], v[42:43]
	v_fma_f64 v[40:41], v[52:53], v[22:23], -v[50:51]
	v_fma_f64 v[32:33], v[56:57], v[32:33], v[54:55]
	v_fma_f64 v[34:35], v[56:57], v[34:35], -v[58:59]
	v_fma_f64 v[42:43], v[60:61], v[28:29], v[64:65]
	v_fma_f64 v[48:49], v[60:61], v[30:31], -v[62:63]
	v_add_f64 v[20:21], v[8:9], -v[24:25]
	v_add_f64 v[22:23], v[10:11], -v[26:27]
	;; [unrolled: 1-line block ×8, first 2 shown]
	v_fma_f64 v[8:9], v[8:9], 2.0, -v[20:21]
	v_fma_f64 v[10:11], v[10:11], 2.0, -v[22:23]
	;; [unrolled: 1-line block ×8, first 2 shown]
	ds_write_b128 v187, v[8:11]
	ds_write_b128 v187, v[20:23] offset:1872
	ds_write_b128 v187, v[12:15] offset:416
	;; [unrolled: 1-line block ×7, first 2 shown]
	s_and_saveexec_b64 s[8:9], s[2:3]
	s_cbranch_execz .LBB0_21
; %bb.20:
	v_mul_f64 v[4:5], v[46:47], v[104:105]
	v_mul_f64 v[6:7], v[46:47], v[106:107]
	v_fma_f64 v[4:5], v[44:45], v[106:107], -v[4:5]
	v_fma_f64 v[8:9], v[44:45], v[104:105], v[6:7]
	v_add_f64 v[6:7], v[2:3], -v[4:5]
	v_add_f64 v[4:5], v[0:1], -v[8:9]
	v_fma_f64 v[2:3], v[2:3], 2.0, -v[6:7]
	v_fma_f64 v[0:1], v[0:1], 2.0, -v[4:5]
	ds_write_b128 v187, v[0:3] offset:1664
	ds_write_b128 v187, v[4:7] offset:3536
.LBB0_21:
	s_or_b64 exec, exec, s[8:9]
	s_waitcnt lgkmcnt(0)
	; wave barrier
	s_waitcnt lgkmcnt(0)
	s_and_b64 exec, exec, s[0:1]
	s_cbranch_execz .LBB0_23
; %bb.22:
	global_load_dwordx4 v[0:3], v213, s[12:13]
	global_load_dwordx4 v[4:7], v213, s[12:13] offset:288
	global_load_dwordx4 v[8:11], v213, s[12:13] offset:576
	;; [unrolled: 1-line block ×11, first 2 shown]
	v_mad_u64_u32 v[80:81], s[0:1], s6, v116, 0
	v_mad_u64_u32 v[82:83], s[2:3], s4, v214, 0
	s_mul_i32 s3, s5, 0x120
	s_mul_hi_u32 s6, s4, 0x120
	s_add_i32 s3, s6, s3
	v_mad_u64_u32 v[84:85], s[6:7], s7, v116, v[81:82]
	s_mul_i32 s2, s4, 0x120
	v_mov_b32_e32 v87, s15
	v_mad_u64_u32 v[85:86], s[4:5], s5, v214, v[83:84]
	v_mov_b32_e32 v81, v84
	v_lshlrev_b64 v[80:81], 4, v[80:81]
	v_mov_b32_e32 v83, v85
	v_lshlrev_b64 v[82:83], 4, v[82:83]
	v_add_co_u32_e32 v80, vcc, s14, v80
	v_addc_co_u32_e32 v81, vcc, v87, v81, vcc
	v_add_co_u32_e32 v80, vcc, v80, v82
	v_addc_co_u32_e32 v81, vcc, v81, v83, vcc
	v_lshl_add_u32 v102, v215, 4, v213
	ds_read_b128 v[48:51], v187
	ds_read_b128 v[52:55], v102 offset:288
	v_mov_b32_e32 v88, s3
	v_add_co_u32_e32 v82, vcc, s2, v80
	v_addc_co_u32_e32 v83, vcc, v81, v88, vcc
	v_mov_b32_e32 v89, s3
	v_add_co_u32_e32 v84, vcc, s2, v82
	v_addc_co_u32_e32 v85, vcc, v83, v89, vcc
	;; [unrolled: 3-line block ×3, first 2 shown]
	ds_read_b128 v[56:59], v102 offset:576
	ds_read_b128 v[60:63], v102 offset:864
	;; [unrolled: 1-line block ×6, first 2 shown]
	s_mov_b32 s0, 0x11811812
	s_mov_b32 s1, 0x3f718118
	v_mov_b32_e32 v103, s3
	s_waitcnt vmcnt(11) lgkmcnt(7)
	v_mul_f64 v[88:89], v[50:51], v[2:3]
	v_mul_f64 v[2:3], v[48:49], v[2:3]
	s_waitcnt vmcnt(10) lgkmcnt(6)
	v_mul_f64 v[90:91], v[54:55], v[6:7]
	v_mul_f64 v[6:7], v[52:53], v[6:7]
	;; [unrolled: 3-line block ×4, first 2 shown]
	v_fma_f64 v[48:49], v[48:49], v[0:1], v[88:89]
	v_fma_f64 v[2:3], v[0:1], v[50:51], -v[2:3]
	v_fma_f64 v[50:51], v[52:53], v[4:5], v[90:91]
	v_fma_f64 v[6:7], v[4:5], v[54:55], -v[6:7]
	;; [unrolled: 2-line block ×4, first 2 shown]
	s_waitcnt vmcnt(7) lgkmcnt(3)
	v_mul_f64 v[96:97], v[66:67], v[18:19]
	v_mul_f64 v[18:19], v[64:65], v[18:19]
	s_waitcnt vmcnt(6) lgkmcnt(2)
	v_mul_f64 v[98:99], v[70:71], v[22:23]
	v_mul_f64 v[22:23], v[68:69], v[22:23]
	;; [unrolled: 1-line block ×10, first 2 shown]
	v_fma_f64 v[56:57], v[64:65], v[16:17], v[96:97]
	v_fma_f64 v[18:19], v[16:17], v[66:67], -v[18:19]
	v_fma_f64 v[48:49], v[68:69], v[20:21], v[98:99]
	v_fma_f64 v[20:21], v[20:21], v[70:71], -v[22:23]
	global_store_dwordx4 v[80:81], v[0:3], off
	global_store_dwordx4 v[82:83], v[4:7], off
	;; [unrolled: 1-line block ×4, first 2 shown]
	s_waitcnt vmcnt(9) lgkmcnt(1)
	v_mul_f64 v[4:5], v[72:73], v[26:27]
	v_mul_f64 v[100:101], v[74:75], v[26:27]
	v_add_co_u32_e32 v6, vcc, s2, v86
	v_mul_f64 v[16:17], v[56:57], s[0:1]
	v_mul_f64 v[18:19], v[18:19], s[0:1]
	;; [unrolled: 1-line block ×4, first 2 shown]
	v_fma_f64 v[4:5], v[24:25], v[74:75], -v[4:5]
	v_fma_f64 v[8:9], v[72:73], v[24:25], v[100:101]
	s_waitcnt vmcnt(8) lgkmcnt(0)
	v_mul_f64 v[10:11], v[78:79], v[30:31]
	v_mul_f64 v[12:13], v[76:77], v[30:31]
	v_addc_co_u32_e32 v7, vcc, v87, v103, vcc
	v_mov_b32_e32 v15, s3
	v_add_co_u32_e32 v14, vcc, s2, v6
	v_addc_co_u32_e32 v15, vcc, v7, v15, vcc
	global_store_dwordx4 v[6:7], v[16:19], off
	global_store_dwordx4 v[14:15], v[0:3], off
	v_fma_f64 v[16:17], v[76:77], v[28:29], v[10:11]
	v_mul_f64 v[2:3], v[4:5], s[0:1]
	ds_read_b128 v[4:7], v102 offset:2304
	v_mul_f64 v[0:1], v[8:9], s[0:1]
	ds_read_b128 v[8:11], v102 offset:2592
	v_fma_f64 v[12:13], v[28:29], v[78:79], -v[12:13]
	v_mov_b32_e32 v22, s3
	s_waitcnt vmcnt(9) lgkmcnt(1)
	v_mul_f64 v[18:19], v[6:7], v[34:35]
	v_mul_f64 v[20:21], v[4:5], v[34:35]
	v_add_co_u32_e32 v14, vcc, s2, v14
	v_addc_co_u32_e32 v15, vcc, v15, v22, vcc
	global_store_dwordx4 v[14:15], v[0:3], off
	v_add_co_u32_e32 v14, vcc, s2, v14
	v_mul_f64 v[0:1], v[16:17], s[0:1]
	v_mul_f64 v[2:3], v[12:13], s[0:1]
	v_fma_f64 v[4:5], v[4:5], v[32:33], v[18:19]
	v_fma_f64 v[6:7], v[32:33], v[6:7], -v[20:21]
	s_waitcnt vmcnt(9) lgkmcnt(0)
	v_mul_f64 v[12:13], v[10:11], v[38:39]
	v_mul_f64 v[16:17], v[8:9], v[38:39]
	v_addc_co_u32_e32 v15, vcc, v15, v22, vcc
	v_mov_b32_e32 v18, s3
	global_store_dwordx4 v[14:15], v[0:3], off
	v_add_co_u32_e32 v14, vcc, s2, v14
	v_mul_f64 v[0:1], v[4:5], s[0:1]
	v_mul_f64 v[2:3], v[6:7], s[0:1]
	v_fma_f64 v[12:13], v[8:9], v[36:37], v[12:13]
	v_fma_f64 v[16:17], v[36:37], v[10:11], -v[16:17]
	ds_read_b128 v[4:7], v102 offset:2880
	ds_read_b128 v[8:11], v102 offset:3168
	v_addc_co_u32_e32 v15, vcc, v15, v18, vcc
	s_waitcnt vmcnt(9) lgkmcnt(1)
	v_mul_f64 v[18:19], v[6:7], v[42:43]
	v_mul_f64 v[20:21], v[4:5], v[42:43]
	s_waitcnt vmcnt(8) lgkmcnt(0)
	v_mul_f64 v[22:23], v[10:11], v[46:47]
	v_mul_f64 v[24:25], v[8:9], v[46:47]
	global_store_dwordx4 v[14:15], v[0:3], off
	v_fma_f64 v[4:5], v[4:5], v[40:41], v[18:19]
	v_mul_f64 v[0:1], v[12:13], s[0:1]
	v_mul_f64 v[2:3], v[16:17], s[0:1]
	v_fma_f64 v[6:7], v[40:41], v[6:7], -v[20:21]
	v_fma_f64 v[8:9], v[8:9], v[44:45], v[22:23]
	v_fma_f64 v[10:11], v[44:45], v[10:11], -v[24:25]
	v_mov_b32_e32 v13, s3
	v_add_co_u32_e32 v12, vcc, s2, v14
	v_addc_co_u32_e32 v13, vcc, v15, v13, vcc
	global_store_dwordx4 v[12:13], v[0:3], off
	v_mov_b32_e32 v14, s3
	v_mul_f64 v[0:1], v[4:5], s[0:1]
	v_mul_f64 v[2:3], v[6:7], s[0:1]
	;; [unrolled: 1-line block ×4, first 2 shown]
	v_add_co_u32_e32 v8, vcc, s2, v12
	v_addc_co_u32_e32 v9, vcc, v13, v14, vcc
	global_store_dwordx4 v[8:9], v[0:3], off
	s_nop 0
	v_mov_b32_e32 v0, s3
	v_add_co_u32_e32 v8, vcc, s2, v8
	v_addc_co_u32_e32 v9, vcc, v9, v0, vcc
	global_store_dwordx4 v[8:9], v[4:7], off
	global_load_dwordx4 v[0:3], v213, s[12:13] offset:3456
	ds_read_b128 v[4:7], v102 offset:3456
	s_waitcnt vmcnt(0) lgkmcnt(0)
	v_mul_f64 v[10:11], v[6:7], v[2:3]
	v_mul_f64 v[2:3], v[4:5], v[2:3]
	v_fma_f64 v[4:5], v[4:5], v[0:1], v[10:11]
	v_fma_f64 v[2:3], v[0:1], v[6:7], -v[2:3]
	v_mul_f64 v[0:1], v[4:5], s[0:1]
	v_mul_f64 v[2:3], v[2:3], s[0:1]
	v_mov_b32_e32 v5, s3
	v_add_co_u32_e32 v4, vcc, s2, v8
	v_addc_co_u32_e32 v5, vcc, v9, v5, vcc
	global_store_dwordx4 v[4:5], v[0:3], off
.LBB0_23:
	s_endpgm
	.section	.rodata,"a",@progbits
	.p2align	6, 0x0
	.amdhsa_kernel bluestein_single_back_len234_dim1_dp_op_CI_CI
		.amdhsa_group_segment_fixed_size 7488
		.amdhsa_private_segment_fixed_size 8
		.amdhsa_kernarg_size 104
		.amdhsa_user_sgpr_count 6
		.amdhsa_user_sgpr_private_segment_buffer 1
		.amdhsa_user_sgpr_dispatch_ptr 0
		.amdhsa_user_sgpr_queue_ptr 0
		.amdhsa_user_sgpr_kernarg_segment_ptr 1
		.amdhsa_user_sgpr_dispatch_id 0
		.amdhsa_user_sgpr_flat_scratch_init 0
		.amdhsa_user_sgpr_private_segment_size 0
		.amdhsa_uses_dynamic_stack 0
		.amdhsa_system_sgpr_private_segment_wavefront_offset 1
		.amdhsa_system_sgpr_workgroup_id_x 1
		.amdhsa_system_sgpr_workgroup_id_y 0
		.amdhsa_system_sgpr_workgroup_id_z 0
		.amdhsa_system_sgpr_workgroup_info 0
		.amdhsa_system_vgpr_workitem_id 0
		.amdhsa_next_free_vgpr 256
		.amdhsa_next_free_sgpr 56
		.amdhsa_reserve_vcc 1
		.amdhsa_reserve_flat_scratch 0
		.amdhsa_float_round_mode_32 0
		.amdhsa_float_round_mode_16_64 0
		.amdhsa_float_denorm_mode_32 3
		.amdhsa_float_denorm_mode_16_64 3
		.amdhsa_dx10_clamp 1
		.amdhsa_ieee_mode 1
		.amdhsa_fp16_overflow 0
		.amdhsa_exception_fp_ieee_invalid_op 0
		.amdhsa_exception_fp_denorm_src 0
		.amdhsa_exception_fp_ieee_div_zero 0
		.amdhsa_exception_fp_ieee_overflow 0
		.amdhsa_exception_fp_ieee_underflow 0
		.amdhsa_exception_fp_ieee_inexact 0
		.amdhsa_exception_int_div_zero 0
	.end_amdhsa_kernel
	.text
.Lfunc_end0:
	.size	bluestein_single_back_len234_dim1_dp_op_CI_CI, .Lfunc_end0-bluestein_single_back_len234_dim1_dp_op_CI_CI
                                        ; -- End function
	.section	.AMDGPU.csdata,"",@progbits
; Kernel info:
; codeLenInByte = 15468
; NumSgprs: 60
; NumVgprs: 256
; ScratchSize: 8
; MemoryBound: 0
; FloatMode: 240
; IeeeMode: 1
; LDSByteSize: 7488 bytes/workgroup (compile time only)
; SGPRBlocks: 7
; VGPRBlocks: 63
; NumSGPRsForWavesPerEU: 60
; NumVGPRsForWavesPerEU: 256
; Occupancy: 1
; WaveLimiterHint : 1
; COMPUTE_PGM_RSRC2:SCRATCH_EN: 1
; COMPUTE_PGM_RSRC2:USER_SGPR: 6
; COMPUTE_PGM_RSRC2:TRAP_HANDLER: 0
; COMPUTE_PGM_RSRC2:TGID_X_EN: 1
; COMPUTE_PGM_RSRC2:TGID_Y_EN: 0
; COMPUTE_PGM_RSRC2:TGID_Z_EN: 0
; COMPUTE_PGM_RSRC2:TIDIG_COMP_CNT: 0
	.type	__hip_cuid_50e05771871c9f04,@object ; @__hip_cuid_50e05771871c9f04
	.section	.bss,"aw",@nobits
	.globl	__hip_cuid_50e05771871c9f04
__hip_cuid_50e05771871c9f04:
	.byte	0                               ; 0x0
	.size	__hip_cuid_50e05771871c9f04, 1

	.ident	"AMD clang version 19.0.0git (https://github.com/RadeonOpenCompute/llvm-project roc-6.4.0 25133 c7fe45cf4b819c5991fe208aaa96edf142730f1d)"
	.section	".note.GNU-stack","",@progbits
	.addrsig
	.addrsig_sym __hip_cuid_50e05771871c9f04
	.amdgpu_metadata
---
amdhsa.kernels:
  - .args:
      - .actual_access:  read_only
        .address_space:  global
        .offset:         0
        .size:           8
        .value_kind:     global_buffer
      - .actual_access:  read_only
        .address_space:  global
        .offset:         8
        .size:           8
        .value_kind:     global_buffer
      - .actual_access:  read_only
        .address_space:  global
        .offset:         16
        .size:           8
        .value_kind:     global_buffer
      - .actual_access:  read_only
        .address_space:  global
        .offset:         24
        .size:           8
        .value_kind:     global_buffer
      - .actual_access:  read_only
        .address_space:  global
        .offset:         32
        .size:           8
        .value_kind:     global_buffer
      - .offset:         40
        .size:           8
        .value_kind:     by_value
      - .address_space:  global
        .offset:         48
        .size:           8
        .value_kind:     global_buffer
      - .address_space:  global
        .offset:         56
        .size:           8
        .value_kind:     global_buffer
      - .address_space:  global
        .offset:         64
        .size:           8
        .value_kind:     global_buffer
      - .address_space:  global
        .offset:         72
        .size:           8
        .value_kind:     global_buffer
      - .offset:         80
        .size:           4
        .value_kind:     by_value
      - .address_space:  global
        .offset:         88
        .size:           8
        .value_kind:     global_buffer
      - .address_space:  global
        .offset:         96
        .size:           8
        .value_kind:     global_buffer
    .group_segment_fixed_size: 7488
    .kernarg_segment_align: 8
    .kernarg_segment_size: 104
    .language:       OpenCL C
    .language_version:
      - 2
      - 0
    .max_flat_workgroup_size: 52
    .name:           bluestein_single_back_len234_dim1_dp_op_CI_CI
    .private_segment_fixed_size: 8
    .sgpr_count:     60
    .sgpr_spill_count: 0
    .symbol:         bluestein_single_back_len234_dim1_dp_op_CI_CI.kd
    .uniform_work_group_size: 1
    .uses_dynamic_stack: false
    .vgpr_count:     256
    .vgpr_spill_count: 1
    .wavefront_size: 64
amdhsa.target:   amdgcn-amd-amdhsa--gfx906
amdhsa.version:
  - 1
  - 2
...

	.end_amdgpu_metadata
